;; amdgpu-corpus repo=ROCm/rocFFT kind=compiled arch=gfx1201 opt=O3
	.text
	.amdgcn_target "amdgcn-amd-amdhsa--gfx1201"
	.amdhsa_code_object_version 6
	.protected	bluestein_single_fwd_len1156_dim1_dp_op_CI_CI ; -- Begin function bluestein_single_fwd_len1156_dim1_dp_op_CI_CI
	.globl	bluestein_single_fwd_len1156_dim1_dp_op_CI_CI
	.p2align	8
	.type	bluestein_single_fwd_len1156_dim1_dp_op_CI_CI,@function
bluestein_single_fwd_len1156_dim1_dp_op_CI_CI: ; @bluestein_single_fwd_len1156_dim1_dp_op_CI_CI
; %bb.0:
	s_load_b128 s[12:15], s[0:1], 0x28
	v_mul_u32_u24_e32 v1, 0x3c4, v0
	s_mov_b32 s2, exec_lo
	s_delay_alu instid0(VALU_DEP_1) | instskip(NEXT) | instid1(VALU_DEP_1)
	v_lshrrev_b32_e32 v1, 16, v1
	v_mad_co_u64_u32 v[44:45], null, ttmp9, 3, v[1:2]
	v_mov_b32_e32 v45, 0
                                        ; kill: def $vgpr2 killed $sgpr0 killed $exec
	s_wait_kmcnt 0x0
	s_delay_alu instid0(VALU_DEP_1)
	v_cmpx_gt_u64_e64 s[12:13], v[44:45]
	s_cbranch_execz .LBB0_18
; %bb.1:
	s_clause 0x1
	s_load_b128 s[4:7], s[0:1], 0x18
	s_load_b128 s[8:11], s[0:1], 0x0
	v_mul_lo_u16 v1, 0x44, v1
	s_mov_b32 s42, 0x7c9e640b
	s_mov_b32 s43, 0xbfeca52d
	;; [unrolled: 1-line block ×4, first 2 shown]
	v_sub_nc_u16 v170, v0, v1
	s_mov_b32 s38, 0xeb564b22
	s_mov_b32 s26, 0x923c349f
	;; [unrolled: 1-line block ×4, first 2 shown]
	v_and_b32_e32 v7, 0xffff, v170
	s_mov_b32 s36, 0xacd6c6b4
	s_mov_b32 s20, 0x2b2883cd
	;; [unrolled: 1-line block ×4, first 2 shown]
	scratch_store_b32 off, v7, off          ; 4-byte Folded Spill
	s_mov_b32 s39, 0xbfefdd0d
	s_mov_b32 s27, 0xbfeec746
	s_wait_kmcnt 0x0
	s_load_b128 s[16:19], s[4:5], 0x0
	s_mov_b32 s29, 0xbfe9895b
	s_mov_b32 s31, 0xbfe0d888
	;; [unrolled: 1-line block ×19, first 2 shown]
	s_wait_kmcnt 0x0
	v_mad_co_u64_u32 v[0:1], null, s18, v44, 0
	v_mad_co_u64_u32 v[2:3], null, s16, v7, 0
	s_mul_u64 s[2:3], s[16:17], 0x440
	s_mov_b32 s48, s36
	s_mov_b32 s55, 0x3fe9895b
	;; [unrolled: 1-line block ×3, first 2 shown]
	v_lshlrev_b32_e32 v244, 4, v7
	s_delay_alu instid0(VALU_DEP_2) | instskip(SKIP_2) | instid1(VALU_DEP_1)
	v_mad_co_u64_u32 v[4:5], null, s19, v44, v[1:2]
	s_mov_b32 s18, 0x3259b75e
	s_mov_b32 s19, 0x3fb79ee6
	v_mad_co_u64_u32 v[5:6], null, s17, v7, v[3:4]
	v_mov_b32_e32 v1, v4
	s_mov_b32 s16, 0xc61f0d01
	s_mov_b32 s17, 0xbfd183b1
	s_delay_alu instid0(VALU_DEP_1) | instskip(NEXT) | instid1(VALU_DEP_3)
	v_lshlrev_b64_e32 v[0:1], 4, v[0:1]
	v_mov_b32_e32 v3, v5
	s_delay_alu instid0(VALU_DEP_2) | instskip(NEXT) | instid1(VALU_DEP_2)
	v_add_co_u32 v0, vcc_lo, s14, v0
	v_lshlrev_b64_e32 v[2:3], 4, v[2:3]
	s_delay_alu instid0(VALU_DEP_4) | instskip(SKIP_2) | instid1(VALU_DEP_2)
	v_add_co_ci_u32_e32 v1, vcc_lo, s15, v1, vcc_lo
	s_mov_b32 s14, 0x6ed5f1bb
	s_mov_b32 s15, 0xbfe348c8
	v_add_co_u32 v4, vcc_lo, v0, v2
	s_wait_alu 0xfffd
	v_add_co_ci_u32_e32 v5, vcc_lo, v1, v3, vcc_lo
	global_load_b128 v[18:21], v244, s[8:9]
	global_load_b128 v[0:3], v[4:5], off
	v_add_co_u32 v8, vcc_lo, v4, s2
	s_wait_alu 0xfffd
	v_add_co_ci_u32_e32 v9, vcc_lo, s3, v5, vcc_lo
	global_load_b128 v[22:25], v244, s[8:9] offset:1088
	global_load_b128 v[4:7], v[8:9], off
	v_add_co_u32 v12, vcc_lo, v8, s2
	s_wait_alu 0xfffd
	v_add_co_ci_u32_e32 v13, vcc_lo, s3, v9, vcc_lo
	global_load_b128 v[26:29], v244, s[8:9] offset:2176
	global_load_b128 v[8:11], v[12:13], off
	s_wait_loadcnt 0x5
	scratch_store_b128 off, v[18:21], off offset:16 ; 16-byte Folded Spill
	s_wait_loadcnt 0x4
	v_mul_f64_e32 v[14:15], v[2:3], v[20:21]
	v_mul_f64_e32 v[16:17], v[0:1], v[20:21]
	s_wait_loadcnt 0x3
	scratch_store_b128 off, v[22:25], off offset:32 ; 16-byte Folded Spill
	s_wait_loadcnt 0x1
	scratch_store_b128 off, v[26:29], off offset:48 ; 16-byte Folded Spill
	v_fma_f64 v[68:69], v[0:1], v[18:19], v[14:15]
	v_fma_f64 v[70:71], v[2:3], v[18:19], -v[16:17]
	v_mul_f64_e32 v[0:1], v[6:7], v[24:25]
	v_mul_f64_e32 v[2:3], v[4:5], v[24:25]
	s_delay_alu instid0(VALU_DEP_2) | instskip(NEXT) | instid1(VALU_DEP_2)
	v_fma_f64 v[72:73], v[4:5], v[22:23], v[0:1]
	v_fma_f64 v[74:75], v[6:7], v[22:23], -v[2:3]
	s_wait_loadcnt 0x0
	v_mul_f64_e32 v[0:1], v[10:11], v[28:29]
	v_mul_f64_e32 v[2:3], v[8:9], v[28:29]
	v_add_co_u32 v4, vcc_lo, v12, s2
	s_wait_alu 0xfffd
	v_add_co_ci_u32_e32 v5, vcc_lo, s3, v13, vcc_lo
	s_delay_alu instid0(VALU_DEP_4) | instskip(NEXT) | instid1(VALU_DEP_4)
	v_fma_f64 v[76:77], v[8:9], v[26:27], v[0:1]
	v_fma_f64 v[78:79], v[10:11], v[26:27], -v[2:3]
	global_load_b128 v[10:13], v244, s[8:9] offset:3264
	global_load_b128 v[0:3], v[4:5], off
	v_add_co_u32 v4, vcc_lo, v4, s2
	s_wait_alu 0xfffd
	v_add_co_ci_u32_e32 v5, vcc_lo, s3, v5, vcc_lo
	s_wait_loadcnt 0x1
	scratch_store_b128 off, v[10:13], off offset:64 ; 16-byte Folded Spill
	s_wait_loadcnt 0x0
	v_mul_f64_e32 v[6:7], v[2:3], v[12:13]
	v_mul_f64_e32 v[8:9], v[0:1], v[12:13]
	s_delay_alu instid0(VALU_DEP_2) | instskip(NEXT) | instid1(VALU_DEP_2)
	v_fma_f64 v[80:81], v[0:1], v[10:11], v[6:7]
	v_fma_f64 v[82:83], v[2:3], v[10:11], -v[8:9]
	global_load_b128 v[10:13], v244, s[8:9] offset:4352
	global_load_b128 v[0:3], v[4:5], off
	v_add_co_u32 v4, vcc_lo, v4, s2
	s_wait_alu 0xfffd
	v_add_co_ci_u32_e32 v5, vcc_lo, s3, v5, vcc_lo
	s_wait_loadcnt 0x1
	scratch_store_b128 off, v[10:13], off offset:80 ; 16-byte Folded Spill
	s_wait_loadcnt 0x0
	v_mul_f64_e32 v[6:7], v[2:3], v[12:13]
	v_mul_f64_e32 v[8:9], v[0:1], v[12:13]
	s_delay_alu instid0(VALU_DEP_2) | instskip(NEXT) | instid1(VALU_DEP_2)
	;; [unrolled: 13-line block ×4, first 2 shown]
	v_fma_f64 v[92:93], v[0:1], v[10:11], v[6:7]
	v_fma_f64 v[94:95], v[2:3], v[10:11], -v[8:9]
	global_load_b128 v[10:13], v244, s[8:9] offset:7616
	global_load_b128 v[0:3], v[4:5], off
	s_wait_loadcnt 0x1
	scratch_store_b128 off, v[10:13], off offset:128 ; 16-byte Folded Spill
	s_wait_loadcnt 0x0
	v_mul_f64_e32 v[8:9], v[0:1], v[12:13]
	v_mul_f64_e32 v[6:7], v[2:3], v[12:13]
	s_delay_alu instid0(VALU_DEP_2) | instskip(SKIP_3) | instid1(VALU_DEP_4)
	v_fma_f64 v[2:3], v[2:3], v[10:11], -v[8:9]
	v_add_co_u32 v8, vcc_lo, v4, s2
	s_wait_alu 0xfffd
	v_add_co_ci_u32_e32 v9, vcc_lo, s3, v5, vcc_lo
	v_fma_f64 v[0:1], v[0:1], v[10:11], v[6:7]
	global_load_b128 v[14:17], v244, s[8:9] offset:8704
	global_load_b128 v[4:7], v[8:9], off
	s_wait_loadcnt 0x1
	scratch_store_b128 off, v[14:17], off offset:144 ; 16-byte Folded Spill
	s_wait_loadcnt 0x0
	v_mul_f64_e32 v[12:13], v[4:5], v[16:17]
	v_mul_f64_e32 v[10:11], v[6:7], v[16:17]
	s_delay_alu instid0(VALU_DEP_2) | instskip(SKIP_3) | instid1(VALU_DEP_4)
	v_fma_f64 v[6:7], v[6:7], v[14:15], -v[12:13]
	v_add_co_u32 v12, vcc_lo, v8, s2
	s_wait_alu 0xfffd
	v_add_co_ci_u32_e32 v13, vcc_lo, s3, v9, vcc_lo
	v_fma_f64 v[4:5], v[4:5], v[14:15], v[10:11]
	;; [unrolled: 13-line block ×4, first 2 shown]
	global_load_b128 v[26:29], v244, s[8:9] offset:11968
	global_load_b128 v[16:19], v[20:21], off
	s_wait_loadcnt 0x1
	scratch_store_b128 off, v[26:29], off offset:192 ; 16-byte Folded Spill
	s_wait_loadcnt 0x0
	v_mul_f64_e32 v[22:23], v[18:19], v[28:29]
	v_mul_f64_e32 v[24:25], v[16:17], v[28:29]
	v_add_co_u32 v28, vcc_lo, v20, s2
	s_wait_alu 0xfffd
	v_add_co_ci_u32_e32 v29, vcc_lo, s3, v21, vcc_lo
	s_delay_alu instid0(VALU_DEP_4)
	v_fma_f64 v[16:17], v[16:17], v[26:27], v[22:23]
	global_load_b128 v[30:33], v244, s[8:9] offset:13056
	global_load_b128 v[20:23], v[28:29], off
	v_fma_f64 v[18:19], v[18:19], v[26:27], -v[24:25]
	s_wait_loadcnt 0x1
	scratch_store_b128 off, v[30:33], off offset:208 ; 16-byte Folded Spill
	s_wait_loadcnt 0x0
	v_mul_f64_e32 v[24:25], v[22:23], v[32:33]
	v_mul_f64_e32 v[26:27], v[20:21], v[32:33]
	v_add_co_u32 v32, vcc_lo, v28, s2
	s_wait_alu 0xfffd
	v_add_co_ci_u32_e32 v33, vcc_lo, s3, v29, vcc_lo
	s_delay_alu instid0(VALU_DEP_4) | instskip(NEXT) | instid1(VALU_DEP_4)
	v_fma_f64 v[24:25], v[20:21], v[30:31], v[24:25]
	v_fma_f64 v[26:27], v[22:23], v[30:31], -v[26:27]
	global_load_b128 v[34:37], v244, s[8:9] offset:14144
	global_load_b128 v[20:23], v[32:33], off
	s_wait_loadcnt 0x1
	scratch_store_b128 off, v[34:37], off offset:224 ; 16-byte Folded Spill
	s_wait_loadcnt 0x0
	v_mul_f64_e32 v[28:29], v[22:23], v[36:37]
	v_mul_f64_e32 v[30:31], v[20:21], v[36:37]
	v_add_co_u32 v36, vcc_lo, v32, s2
	s_wait_alu 0xfffd
	v_add_co_ci_u32_e32 v37, vcc_lo, s3, v33, vcc_lo
	s_delay_alu instid0(VALU_DEP_4) | instskip(NEXT) | instid1(VALU_DEP_4)
	v_fma_f64 v[28:29], v[20:21], v[34:35], v[28:29]
	v_fma_f64 v[30:31], v[22:23], v[34:35], -v[30:31]
	global_load_b128 v[38:41], v244, s[8:9] offset:15232
	global_load_b128 v[20:23], v[36:37], off
	;; [unrolled: 13-line block ×3, first 2 shown]
	s_wait_loadcnt 0x1
	scratch_store_b128 off, v[45:48], off offset:256 ; 16-byte Folded Spill
	s_wait_loadcnt 0x0
	v_mul_f64_e32 v[36:37], v[22:23], v[47:48]
	v_mul_f64_e32 v[38:39], v[20:21], v[47:48]
	s_delay_alu instid0(VALU_DEP_2) | instskip(SKIP_3) | instid1(VALU_DEP_4)
	v_fma_f64 v[36:37], v[20:21], v[45:46], v[36:37]
	v_add_co_u32 v20, vcc_lo, v40, s2
	s_wait_alu 0xfffd
	v_add_co_ci_u32_e32 v21, vcc_lo, s3, v41, vcc_lo
	v_fma_f64 v[38:39], v[22:23], v[45:46], -v[38:39]
	global_load_b128 v[20:23], v[20:21], off
	global_load_b128 v[45:48], v244, s[8:9] offset:17408
	s_mov_b32 s2, 0x7faef3
	s_mov_b32 s3, 0xbfef7484
	v_cmp_gt_u16_e64 vcc_lo, 34, v170
	s_wait_loadcnt 0x0
	v_mul_f64_e32 v[40:41], v[22:23], v[47:48]
	v_mul_f64_e32 v[42:43], v[20:21], v[47:48]
	s_delay_alu instid0(VALU_DEP_2) | instskip(SKIP_1) | instid1(VALU_DEP_3)
	v_fma_f64 v[40:41], v[20:21], v[45:46], v[40:41]
	v_mul_hi_u32 v20, 0xaaaaaaab, v44
	v_fma_f64 v[42:43], v[22:23], v[45:46], -v[42:43]
	v_mov_b32_e32 v21, v44
	s_clause 0x1
	scratch_store_b128 off, v[45:48], off offset:272
	scratch_store_b64 off, v[21:22], off offset:8
	v_lshrrev_b32_e32 v20, 1, v20
	s_delay_alu instid0(VALU_DEP_1) | instskip(NEXT) | instid1(VALU_DEP_1)
	v_lshl_add_u32 v20, v20, 1, v20
	v_sub_nc_u32_e32 v20, v44, v20
	s_delay_alu instid0(VALU_DEP_1) | instskip(NEXT) | instid1(VALU_DEP_1)
	v_mul_u32_u24_e32 v20, 0x484, v20
	v_lshlrev_b32_e32 v185, 4, v20
	s_delay_alu instid0(VALU_DEP_1)
	v_add_nc_u32_e32 v20, v244, v185
	ds_store_b128 v20, v[68:71]
	ds_store_b128 v20, v[72:75] offset:1088
	ds_store_b128 v20, v[76:79] offset:2176
	;; [unrolled: 1-line block ×16, first 2 shown]
	s_load_b128 s[4:7], s[6:7], 0x0
	global_wb scope:SCOPE_SE
	s_wait_storecnt_dscnt 0x0
	s_wait_kmcnt 0x0
	s_barrier_signal -1
	s_barrier_wait -1
	global_inv scope:SCOPE_SE
	ds_load_b128 v[68:71], v20
	ds_load_b128 v[72:75], v20 offset:1088
	ds_load_b128 v[76:79], v20 offset:2176
	;; [unrolled: 1-line block ×10, first 2 shown]
	v_mov_b32_e32 v247, v185
	s_wait_dscnt 0x9
	v_add_f64_e32 v[0:1], v[68:69], v[72:73]
	v_add_f64_e32 v[2:3], v[70:71], v[74:75]
	s_wait_dscnt 0x1
	v_add_f64_e64 v[112:113], v[100:101], -v[104:105]
	s_wait_dscnt 0x0
	v_add_f64_e64 v[126:127], v[96:97], -v[8:9]
	v_add_f64_e64 v[128:129], v[98:99], -v[10:11]
	;; [unrolled: 1-line block ×3, first 2 shown]
	v_add_f64_e32 v[0:1], v[0:1], v[76:77]
	v_add_f64_e32 v[2:3], v[2:3], v[78:79]
	v_mul_f64_e32 v[168:169], s[36:37], v[112:113]
	v_mul_f64_e32 v[181:182], s[44:45], v[126:127]
	;; [unrolled: 1-line block ×5, first 2 shown]
	v_add_f64_e32 v[0:1], v[0:1], v[80:81]
	v_add_f64_e32 v[2:3], v[2:3], v[82:83]
	s_delay_alu instid0(VALU_DEP_2) | instskip(NEXT) | instid1(VALU_DEP_2)
	v_add_f64_e32 v[0:1], v[0:1], v[84:85]
	v_add_f64_e32 v[2:3], v[2:3], v[86:87]
	s_delay_alu instid0(VALU_DEP_2) | instskip(NEXT) | instid1(VALU_DEP_2)
	;; [unrolled: 3-line block ×5, first 2 shown]
	v_add_f64_e32 v[4:5], v[0:1], v[100:101]
	v_add_f64_e32 v[6:7], v[2:3], v[102:103]
	;; [unrolled: 1-line block ×4, first 2 shown]
	s_delay_alu instid0(VALU_DEP_4) | instskip(NEXT) | instid1(VALU_DEP_4)
	v_add_f64_e32 v[12:13], v[4:5], v[104:105]
	v_add_f64_e32 v[14:15], v[6:7], v[106:107]
	v_add_f64_e32 v[4:5], v[96:97], v[8:9]
	v_add_f64_e32 v[6:7], v[98:99], v[10:11]
	s_delay_alu instid0(VALU_DEP_4) | instskip(NEXT) | instid1(VALU_DEP_4)
	v_add_f64_e32 v[16:17], v[12:13], v[8:9]
	v_add_f64_e32 v[18:19], v[14:15], v[10:11]
	ds_load_b128 v[12:15], v20 offset:11968
	s_wait_dscnt 0x0
	v_add_f64_e32 v[8:9], v[92:93], v[12:13]
	v_add_f64_e32 v[10:11], v[94:95], v[14:15]
	v_add_f64_e64 v[130:131], v[92:93], -v[12:13]
	v_add_f64_e64 v[132:133], v[94:95], -v[14:15]
	v_add_f64_e32 v[21:22], v[16:17], v[12:13]
	v_add_f64_e32 v[23:24], v[18:19], v[14:15]
	ds_load_b128 v[16:19], v20 offset:13056
	s_wait_dscnt 0x0
	v_add_f64_e32 v[12:13], v[88:89], v[16:17]
	v_add_f64_e32 v[14:15], v[90:91], v[18:19]
	v_add_f64_e64 v[134:135], v[88:89], -v[16:17]
	v_add_f64_e64 v[136:137], v[90:91], -v[18:19]
	v_mul_f64_e32 v[175:176], s[50:51], v[132:133]
	v_mul_f64_e32 v[177:178], s[50:51], v[130:131]
	v_add_f64_e32 v[25:26], v[21:22], v[16:17]
	v_add_f64_e32 v[27:28], v[23:24], v[18:19]
	ds_load_b128 v[21:24], v20 offset:14144
	s_wait_dscnt 0x0
	v_add_f64_e32 v[16:17], v[84:85], v[21:22]
	v_add_f64_e32 v[18:19], v[86:87], v[23:24]
	v_add_f64_e64 v[138:139], v[84:85], -v[21:22]
	v_add_f64_e64 v[140:141], v[86:87], -v[23:24]
	v_mul_f64_e32 v[171:172], s[52:53], v[136:137]
	v_mul_f64_e32 v[173:174], s[52:53], v[134:135]
	v_add_f64_e32 v[29:30], v[25:26], v[21:22]
	v_add_f64_e32 v[31:32], v[27:28], v[23:24]
	ds_load_b128 v[25:28], v20 offset:15232
	s_wait_dscnt 0x0
	v_add_f64_e32 v[21:22], v[80:81], v[25:26]
	v_add_f64_e32 v[23:24], v[82:83], v[27:28]
	v_add_f64_e64 v[142:143], v[80:81], -v[25:26]
	v_add_f64_e64 v[144:145], v[82:83], -v[27:28]
	v_add_f64_e32 v[33:34], v[29:30], v[25:26]
	v_add_f64_e32 v[35:36], v[31:32], v[27:28]
	ds_load_b128 v[29:32], v20 offset:16320
	s_wait_dscnt 0x0
	v_add_f64_e32 v[25:26], v[76:77], v[29:30]
	v_add_f64_e32 v[27:28], v[78:79], v[31:32]
	v_add_f64_e64 v[146:147], v[76:77], -v[29:30]
	v_add_f64_e64 v[148:149], v[78:79], -v[31:32]
	v_add_f64_e32 v[33:34], v[33:34], v[29:30]
	v_add_f64_e32 v[35:36], v[35:36], v[31:32]
	ds_load_b128 v[29:32], v20 offset:17408
	global_wb scope:SCOPE_SE
	s_wait_dscnt 0x0
	s_barrier_signal -1
	s_barrier_wait -1
	global_inv scope:SCOPE_SE
	v_add_f64_e64 v[37:38], v[74:75], -v[31:32]
	v_add_f64_e32 v[39:40], v[72:73], v[29:30]
	v_add_f64_e64 v[43:44], v[72:73], -v[29:30]
	v_add_f64_e32 v[41:42], v[74:75], v[31:32]
	v_add_f64_e32 v[72:73], v[33:34], v[29:30]
	v_add_f64_e32 v[74:75], v[35:36], v[31:32]
	v_mul_f64_e32 v[33:34], s[42:43], v[37:38]
	v_mul_f64_e32 v[29:30], s[34:35], v[37:38]
	v_mul_f64_e32 v[31:32], s[40:41], v[37:38]
	v_mul_f64_e32 v[35:36], s[38:39], v[37:38]
	v_mul_f64_e32 v[45:46], s[26:27], v[37:38]
	v_mul_f64_e32 v[47:48], s[28:29], v[37:38]
	v_mul_f64_e32 v[49:50], s[30:31], v[37:38]
	v_mul_f64_e32 v[37:38], s[36:37], v[37:38]
	v_mul_f64_e32 v[59:60], s[38:39], v[43:44]
	v_mul_f64_e32 v[61:62], s[26:27], v[43:44]
	v_mul_f64_e32 v[63:64], s[28:29], v[43:44]
	v_mul_f64_e32 v[65:66], s[30:31], v[43:44]
	v_fma_f64 v[57:58], v[39:40], s[20:21], -v[33:34]
	v_fma_f64 v[33:34], v[39:40], s[20:21], v[33:34]
	v_fma_f64 v[51:52], v[39:40], s[24:25], -v[29:30]
	v_fma_f64 v[29:30], v[39:40], s[24:25], v[29:30]
	;; [unrolled: 2-line block ×8, first 2 shown]
	v_mul_f64_e32 v[31:32], s[34:35], v[43:44]
	v_mul_f64_e32 v[39:40], s[40:41], v[43:44]
	v_fma_f64 v[94:95], v[41:42], s[18:19], v[59:60]
	v_fma_f64 v[100:101], v[41:42], s[18:19], -v[59:60]
	v_mul_f64_e32 v[49:50], s[42:43], v[43:44]
	v_mul_f64_e32 v[43:44], s[36:37], v[43:44]
	v_fma_f64 v[104:105], v[41:42], s[16:17], v[61:62]
	v_fma_f64 v[106:107], v[41:42], s[16:17], -v[61:62]
	v_fma_f64 v[108:109], v[41:42], s[14:15], v[63:64]
	v_fma_f64 v[110:111], v[41:42], s[14:15], -v[63:64]
	;; [unrolled: 2-line block ×3, first 2 shown]
	v_add_f64_e32 v[84:85], v[68:69], v[57:58]
	v_add_f64_e32 v[59:60], v[68:69], v[33:34]
	v_mul_f64_e32 v[33:34], s[40:41], v[148:149]
	v_add_f64_e32 v[120:121], v[68:69], v[51:52]
	v_add_f64_e32 v[29:30], v[68:69], v[29:30]
	;; [unrolled: 1-line block ×7, first 2 shown]
	v_mul_f64_e32 v[86:87], s[38:39], v[148:149]
	v_add_f64_e32 v[45:46], v[68:69], v[90:91]
	v_add_f64_e32 v[156:157], v[68:69], v[98:99]
	;; [unrolled: 1-line block ×3, first 2 shown]
	v_fma_f64 v[76:77], v[41:42], s[24:25], v[31:32]
	v_fma_f64 v[78:79], v[41:42], s[22:23], v[39:40]
	v_fma_f64 v[39:40], v[41:42], s[22:23], -v[39:40]
	v_add_f64_e32 v[96:97], v[70:71], v[94:95]
	v_add_f64_e32 v[94:95], v[68:69], v[35:36]
	v_fma_f64 v[31:32], v[41:42], s[24:25], -v[31:32]
	v_fma_f64 v[92:93], v[41:42], s[20:21], v[49:50]
	v_fma_f64 v[49:50], v[41:42], s[20:21], -v[49:50]
	v_fma_f64 v[118:119], v[41:42], s[2:3], v[43:44]
	v_fma_f64 v[41:42], v[41:42], s[2:3], -v[43:44]
	v_add_f64_e32 v[51:52], v[70:71], v[106:107]
	v_add_f64_e32 v[162:163], v[70:71], v[108:109]
	;; [unrolled: 1-line block ×5, first 2 shown]
	v_mul_f64_e32 v[106:107], s[26:27], v[136:137]
	v_mul_f64_e32 v[114:115], s[26:27], v[134:135]
	;; [unrolled: 1-line block ×7, first 2 shown]
	v_fma_f64 v[35:36], v[25:26], s[22:23], -v[33:34]
	v_add_f64_e32 v[122:123], v[70:71], v[76:77]
	v_add_f64_e32 v[63:64], v[70:71], v[78:79]
	v_add_f64_e32 v[76:77], v[70:71], v[39:40]
	v_add_f64_e32 v[78:79], v[68:69], v[55:56]
	v_add_f64_e32 v[55:56], v[68:69], v[80:81]
	v_add_f64_e32 v[31:32], v[70:71], v[31:32]
	v_add_f64_e32 v[61:62], v[70:71], v[92:93]
	v_add_f64_e32 v[57:58], v[70:71], v[49:50]
	v_add_f64_e32 v[49:50], v[68:69], v[88:89]
	v_add_f64_e32 v[150:151], v[70:71], v[41:42]
	v_add_f64_e32 v[92:93], v[70:71], v[100:101]
	v_add_f64_e32 v[100:101], v[70:71], v[104:105]
	v_add_f64_e32 v[154:155], v[70:71], v[118:119]
	v_mul_f64_e32 v[104:105], s[38:39], v[138:139]
	v_mul_f64_e32 v[118:119], s[28:29], v[130:131]
	;; [unrolled: 1-line block ×3, first 2 shown]
	v_add_f64_e32 v[39:40], v[35:36], v[120:121]
	v_mul_f64_e32 v[35:36], s[40:41], v[146:147]
	v_mul_f64_e32 v[120:121], s[30:31], v[128:129]
	s_delay_alu instid0(VALU_DEP_2) | instskip(NEXT) | instid1(VALU_DEP_1)
	v_fma_f64 v[37:38], v[27:28], s[22:23], v[35:36]
	v_add_f64_e32 v[41:42], v[37:38], v[122:123]
	v_mul_f64_e32 v[37:38], s[42:43], v[144:145]
	v_mul_f64_e32 v[122:123], s[30:31], v[126:127]
	s_delay_alu instid0(VALU_DEP_2) | instskip(NEXT) | instid1(VALU_DEP_1)
	v_fma_f64 v[67:68], v[21:22], s[20:21], -v[37:38]
	v_add_f64_e32 v[67:68], v[67:68], v[39:40]
	v_mul_f64_e32 v[39:40], s[42:43], v[142:143]
	s_delay_alu instid0(VALU_DEP_1) | instskip(NEXT) | instid1(VALU_DEP_1)
	v_fma_f64 v[69:70], v[23:24], s[20:21], v[39:40]
	v_add_f64_e32 v[69:70], v[69:70], v[41:42]
	v_mul_f64_e32 v[41:42], s[38:39], v[140:141]
	s_delay_alu instid0(VALU_DEP_1) | instskip(NEXT) | instid1(VALU_DEP_1)
	v_fma_f64 v[80:81], v[16:17], s[18:19], -v[41:42]
	v_add_f64_e32 v[67:68], v[80:81], v[67:68]
	v_fma_f64 v[80:81], v[18:19], s[18:19], v[104:105]
	s_delay_alu instid0(VALU_DEP_1) | instskip(SKIP_1) | instid1(VALU_DEP_1)
	v_add_f64_e32 v[69:70], v[80:81], v[69:70]
	v_fma_f64 v[80:81], v[12:13], s[16:17], -v[106:107]
	v_add_f64_e32 v[67:68], v[80:81], v[67:68]
	v_fma_f64 v[80:81], v[14:15], s[16:17], v[114:115]
	s_delay_alu instid0(VALU_DEP_1) | instskip(SKIP_1) | instid1(VALU_DEP_1)
	v_add_f64_e32 v[69:70], v[80:81], v[69:70]
	;; [unrolled: 5-line block ×11, first 2 shown]
	v_fma_f64 v[80:81], v[0:1], s[24:25], -v[183:184]
	v_add_f64_e32 v[80:81], v[80:81], v[65:66]
	v_mul_f64_e32 v[65:66], s[46:47], v[112:113]
	s_delay_alu instid0(VALU_DEP_1) | instskip(SKIP_1) | instid1(VALU_DEP_2)
	v_fma_f64 v[82:83], v[2:3], s[24:25], v[65:66]
	v_fma_f64 v[65:66], v[2:3], s[24:25], -v[65:66]
	v_add_f64_e32 v[82:83], v[82:83], v[63:64]
	v_fma_f64 v[63:64], v[25:26], s[18:19], v[86:87]
	s_delay_alu instid0(VALU_DEP_1) | instskip(SKIP_1) | instid1(VALU_DEP_1)
	v_add_f64_e32 v[63:64], v[63:64], v[78:79]
	v_fma_f64 v[78:79], v[27:28], s[18:19], -v[88:89]
	v_add_f64_e32 v[76:77], v[78:79], v[76:77]
	v_fma_f64 v[78:79], v[21:22], s[14:15], v[90:91]
	s_delay_alu instid0(VALU_DEP_1) | instskip(SKIP_2) | instid1(VALU_DEP_2)
	v_add_f64_e32 v[63:64], v[78:79], v[63:64]
	v_fma_f64 v[78:79], v[23:24], s[14:15], -v[98:99]
	v_mul_f64_e32 v[98:99], s[48:49], v[142:143]
	v_add_f64_e32 v[76:77], v[78:79], v[76:77]
	v_fma_f64 v[78:79], v[16:17], s[2:3], v[108:109]
	v_mul_f64_e32 v[108:109], s[50:51], v[140:141]
	s_delay_alu instid0(VALU_DEP_2) | instskip(SKIP_2) | instid1(VALU_DEP_2)
	v_add_f64_e32 v[63:64], v[78:79], v[63:64]
	v_fma_f64 v[78:79], v[18:19], s[2:3], -v[110:111]
	v_mul_f64_e32 v[110:111], s[50:51], v[138:139]
	v_add_f64_e32 v[76:77], v[78:79], v[76:77]
	v_fma_f64 v[78:79], v[12:13], s[12:13], v[171:172]
	s_delay_alu instid0(VALU_DEP_1) | instskip(SKIP_1) | instid1(VALU_DEP_1)
	v_add_f64_e32 v[63:64], v[78:79], v[63:64]
	v_fma_f64 v[78:79], v[14:15], s[12:13], -v[173:174]
	v_add_f64_e32 v[76:77], v[78:79], v[76:77]
	v_fma_f64 v[78:79], v[8:9], s[16:17], v[175:176]
	v_mul_f64_e32 v[175:176], s[34:35], v[132:133]
	s_delay_alu instid0(VALU_DEP_2) | instskip(SKIP_2) | instid1(VALU_DEP_2)
	v_add_f64_e32 v[63:64], v[78:79], v[63:64]
	v_fma_f64 v[78:79], v[10:11], s[16:17], -v[177:178]
	v_mul_f64_e32 v[177:178], s[34:35], v[130:131]
	v_add_f64_e32 v[76:77], v[78:79], v[76:77]
	v_fma_f64 v[78:79], v[4:5], s[20:21], v[179:180]
	v_mul_f64_e32 v[179:180], s[38:39], v[128:129]
	s_delay_alu instid0(VALU_DEP_2) | instskip(SKIP_2) | instid1(VALU_DEP_2)
	v_add_f64_e32 v[63:64], v[78:79], v[63:64]
	v_fma_f64 v[78:79], v[6:7], s[20:21], -v[181:182]
	v_mul_f64_e32 v[181:182], s[38:39], v[126:127]
	v_add_f64_e32 v[78:79], v[78:79], v[76:77]
	v_fma_f64 v[76:77], v[0:1], s[24:25], v[183:184]
	v_mul_f64_e32 v[183:184], s[30:31], v[124:125]
	s_delay_alu instid0(VALU_DEP_3) | instskip(NEXT) | instid1(VALU_DEP_3)
	v_add_f64_e32 v[78:79], v[65:66], v[78:79]
	v_add_f64_e32 v[76:77], v[76:77], v[63:64]
	v_mul_f64_e32 v[63:64], s[28:29], v[148:149]
	s_delay_alu instid0(VALU_DEP_1) | instskip(NEXT) | instid1(VALU_DEP_1)
	v_fma_f64 v[65:66], v[25:26], s[14:15], -v[63:64]
	v_add_f64_e32 v[65:66], v[65:66], v[84:85]
	v_mul_f64_e32 v[84:85], s[28:29], v[146:147]
	s_delay_alu instid0(VALU_DEP_1) | instskip(NEXT) | instid1(VALU_DEP_1)
	v_fma_f64 v[86:87], v[27:28], s[14:15], v[84:85]
	v_add_f64_e32 v[61:62], v[86:87], v[61:62]
	v_mul_f64_e32 v[86:87], s[48:49], v[144:145]
	s_mov_b32 s49, 0x3fe58eea
	s_mov_b32 s48, s40
	s_wait_alu 0xfffe
	v_mul_f64_e32 v[171:172], s[48:49], v[136:137]
	v_mul_f64_e32 v[173:174], s[48:49], v[134:135]
	s_delay_alu instid0(VALU_DEP_3) | instskip(NEXT) | instid1(VALU_DEP_1)
	v_fma_f64 v[88:89], v[21:22], s[2:3], -v[86:87]
	v_add_f64_e32 v[65:66], v[88:89], v[65:66]
	v_fma_f64 v[88:89], v[23:24], s[2:3], v[98:99]
	s_delay_alu instid0(VALU_DEP_1) | instskip(SKIP_1) | instid1(VALU_DEP_1)
	v_add_f64_e32 v[61:62], v[88:89], v[61:62]
	v_fma_f64 v[88:89], v[16:17], s[16:17], -v[108:109]
	v_add_f64_e32 v[65:66], v[88:89], v[65:66]
	v_fma_f64 v[88:89], v[18:19], s[16:17], v[110:111]
	s_delay_alu instid0(VALU_DEP_1) | instskip(SKIP_1) | instid1(VALU_DEP_1)
	v_add_f64_e32 v[61:62], v[88:89], v[61:62]
	;; [unrolled: 5-line block ×5, first 2 shown]
	v_fma_f64 v[88:89], v[0:1], s[12:13], -v[183:184]
	v_add_f64_e32 v[88:89], v[88:89], v[65:66]
	v_mul_f64_e32 v[65:66], s[30:31], v[112:113]
	s_delay_alu instid0(VALU_DEP_1) | instskip(NEXT) | instid1(VALU_DEP_1)
	v_fma_f64 v[90:91], v[2:3], s[12:13], v[65:66]
	v_add_f64_e32 v[90:91], v[90:91], v[61:62]
	v_fma_f64 v[61:62], v[25:26], s[14:15], v[63:64]
	v_fma_f64 v[63:64], v[2:3], s[12:13], -v[65:66]
	s_delay_alu instid0(VALU_DEP_2) | instskip(SKIP_1) | instid1(VALU_DEP_1)
	v_add_f64_e32 v[59:60], v[61:62], v[59:60]
	v_fma_f64 v[61:62], v[27:28], s[14:15], -v[84:85]
	v_add_f64_e32 v[57:58], v[61:62], v[57:58]
	v_fma_f64 v[61:62], v[21:22], s[2:3], v[86:87]
	s_delay_alu instid0(VALU_DEP_1) | instskip(SKIP_1) | instid1(VALU_DEP_1)
	v_add_f64_e32 v[59:60], v[61:62], v[59:60]
	v_fma_f64 v[61:62], v[23:24], s[2:3], -v[98:99]
	v_add_f64_e32 v[57:58], v[61:62], v[57:58]
	v_fma_f64 v[61:62], v[16:17], s[16:17], v[108:109]
	v_mul_f64_e32 v[108:109], s[46:47], v[140:141]
	s_delay_alu instid0(VALU_DEP_2) | instskip(SKIP_2) | instid1(VALU_DEP_2)
	v_add_f64_e32 v[59:60], v[61:62], v[59:60]
	v_fma_f64 v[61:62], v[18:19], s[16:17], -v[110:111]
	v_mul_f64_e32 v[110:111], s[46:47], v[138:139]
	v_add_f64_e32 v[57:58], v[61:62], v[57:58]
	v_fma_f64 v[61:62], v[12:13], s[22:23], v[171:172]
	v_mul_f64_e32 v[171:172], s[42:43], v[136:137]
	s_delay_alu instid0(VALU_DEP_2) | instskip(SKIP_2) | instid1(VALU_DEP_2)
	v_add_f64_e32 v[59:60], v[61:62], v[59:60]
	v_fma_f64 v[61:62], v[14:15], s[22:23], -v[173:174]
	v_mul_f64_e32 v[173:174], s[42:43], v[134:135]
	;; [unrolled: 7-line block ×4, first 2 shown]
	v_add_f64_e32 v[57:58], v[61:62], v[57:58]
	v_fma_f64 v[61:62], v[0:1], s[12:13], v[183:184]
	v_mul_f64_e32 v[183:184], s[48:49], v[124:125]
	s_delay_alu instid0(VALU_DEP_3) | instskip(SKIP_1) | instid1(VALU_DEP_4)
	v_add_f64_e32 v[86:87], v[63:64], v[57:58]
	v_mul_f64_e32 v[57:58], s[36:37], v[148:149]
	v_add_f64_e32 v[84:85], v[61:62], v[59:60]
	v_mul_f64_e32 v[63:64], s[50:51], v[144:145]
	s_delay_alu instid0(VALU_DEP_3) | instskip(SKIP_1) | instid1(VALU_DEP_3)
	v_fma_f64 v[59:60], v[25:26], s[2:3], -v[57:58]
	v_fma_f64 v[57:58], v[25:26], s[2:3], v[57:58]
	v_fma_f64 v[65:66], v[21:22], s[16:17], -v[63:64]
	s_delay_alu instid0(VALU_DEP_3) | instskip(SKIP_1) | instid1(VALU_DEP_4)
	v_add_f64_e32 v[55:56], v[59:60], v[55:56]
	v_mul_f64_e32 v[59:60], s[36:37], v[146:147]
	v_add_f64_e32 v[57:58], v[57:58], v[94:95]
	s_delay_alu instid0(VALU_DEP_3) | instskip(NEXT) | instid1(VALU_DEP_3)
	v_add_f64_e32 v[55:56], v[65:66], v[55:56]
	v_fma_f64 v[61:62], v[27:28], s[2:3], v[59:60]
	v_mul_f64_e32 v[65:66], s[50:51], v[142:143]
	v_fma_f64 v[59:60], v[27:28], s[2:3], -v[59:60]
	s_delay_alu instid0(VALU_DEP_3) | instskip(NEXT) | instid1(VALU_DEP_3)
	v_add_f64_e32 v[61:62], v[61:62], v[96:97]
	v_fma_f64 v[96:97], v[23:24], s[16:17], v[65:66]
	s_delay_alu instid0(VALU_DEP_3) | instskip(NEXT) | instid1(VALU_DEP_2)
	v_add_f64_e32 v[59:60], v[59:60], v[92:93]
	v_add_f64_e32 v[61:62], v[96:97], v[61:62]
	v_fma_f64 v[96:97], v[16:17], s[24:25], -v[108:109]
	s_delay_alu instid0(VALU_DEP_1) | instskip(SKIP_1) | instid1(VALU_DEP_1)
	v_add_f64_e32 v[55:56], v[96:97], v[55:56]
	v_fma_f64 v[96:97], v[18:19], s[24:25], v[110:111]
	v_add_f64_e32 v[61:62], v[96:97], v[61:62]
	v_fma_f64 v[96:97], v[12:13], s[20:21], -v[171:172]
	s_delay_alu instid0(VALU_DEP_1) | instskip(SKIP_1) | instid1(VALU_DEP_1)
	v_add_f64_e32 v[55:56], v[96:97], v[55:56]
	v_fma_f64 v[96:97], v[14:15], s[20:21], v[173:174]
	v_add_f64_e32 v[61:62], v[96:97], v[61:62]
	v_fma_f64 v[96:97], v[8:9], s[12:13], -v[175:176]
	s_delay_alu instid0(VALU_DEP_1) | instskip(SKIP_1) | instid1(VALU_DEP_1)
	v_add_f64_e32 v[55:56], v[96:97], v[55:56]
	v_fma_f64 v[96:97], v[10:11], s[12:13], v[177:178]
	v_add_f64_e32 v[61:62], v[96:97], v[61:62]
	v_fma_f64 v[96:97], v[4:5], s[14:15], -v[179:180]
	s_delay_alu instid0(VALU_DEP_1) | instskip(SKIP_1) | instid1(VALU_DEP_1)
	v_add_f64_e32 v[55:56], v[96:97], v[55:56]
	v_fma_f64 v[96:97], v[6:7], s[14:15], v[181:182]
	v_add_f64_e32 v[61:62], v[96:97], v[61:62]
	v_fma_f64 v[96:97], v[0:1], s[22:23], -v[183:184]
	s_delay_alu instid0(VALU_DEP_1) | instskip(SKIP_1) | instid1(VALU_DEP_1)
	v_add_f64_e32 v[96:97], v[96:97], v[55:56]
	v_mul_f64_e32 v[55:56], s[48:49], v[112:113]
	v_fma_f64 v[98:99], v[2:3], s[22:23], v[55:56]
	v_fma_f64 v[55:56], v[2:3], s[22:23], -v[55:56]
	s_delay_alu instid0(VALU_DEP_2) | instskip(SKIP_2) | instid1(VALU_DEP_2)
	v_add_f64_e32 v[98:99], v[98:99], v[61:62]
	v_fma_f64 v[61:62], v[21:22], s[16:17], v[63:64]
	v_mul_f64_e32 v[63:64], s[48:49], v[144:145]
	v_add_f64_e32 v[57:58], v[61:62], v[57:58]
	v_fma_f64 v[61:62], v[23:24], s[16:17], -v[65:66]
	s_delay_alu instid0(VALU_DEP_3) | instskip(NEXT) | instid1(VALU_DEP_2)
	v_fma_f64 v[65:66], v[21:22], s[22:23], -v[63:64]
	v_add_f64_e32 v[59:60], v[61:62], v[59:60]
	v_fma_f64 v[61:62], v[16:17], s[24:25], v[108:109]
	s_delay_alu instid0(VALU_DEP_1) | instskip(SKIP_1) | instid1(VALU_DEP_1)
	v_add_f64_e32 v[57:58], v[61:62], v[57:58]
	v_fma_f64 v[61:62], v[18:19], s[24:25], -v[110:111]
	v_add_f64_e32 v[59:60], v[61:62], v[59:60]
	v_fma_f64 v[61:62], v[12:13], s[20:21], v[171:172]
	v_mul_f64_e32 v[171:172], s[36:37], v[136:137]
	s_delay_alu instid0(VALU_DEP_2) | instskip(SKIP_2) | instid1(VALU_DEP_2)
	v_add_f64_e32 v[57:58], v[61:62], v[57:58]
	v_fma_f64 v[61:62], v[14:15], s[20:21], -v[173:174]
	v_mul_f64_e32 v[173:174], s[36:37], v[134:135]
	v_add_f64_e32 v[59:60], v[61:62], v[59:60]
	v_fma_f64 v[61:62], v[8:9], s[12:13], v[175:176]
	s_delay_alu instid0(VALU_DEP_1) | instskip(SKIP_1) | instid1(VALU_DEP_1)
	v_add_f64_e32 v[57:58], v[61:62], v[57:58]
	v_fma_f64 v[61:62], v[10:11], s[12:13], -v[177:178]
	v_add_f64_e32 v[59:60], v[61:62], v[59:60]
	v_fma_f64 v[61:62], v[4:5], s[14:15], v[179:180]
	v_mul_f64_e32 v[179:180], s[34:35], v[128:129]
	s_delay_alu instid0(VALU_DEP_2) | instskip(SKIP_2) | instid1(VALU_DEP_2)
	v_add_f64_e32 v[57:58], v[61:62], v[57:58]
	v_fma_f64 v[61:62], v[6:7], s[14:15], -v[181:182]
	v_mul_f64_e32 v[181:182], s[34:35], v[126:127]
	v_add_f64_e32 v[59:60], v[61:62], v[59:60]
	v_fma_f64 v[61:62], v[0:1], s[22:23], v[183:184]
	v_mul_f64_e32 v[183:184], s[28:29], v[124:125]
	s_delay_alu instid0(VALU_DEP_3) | instskip(SKIP_1) | instid1(VALU_DEP_4)
	v_add_f64_e32 v[94:95], v[55:56], v[59:60]
	v_mul_f64_e32 v[55:56], s[52:53], v[148:149]
	v_add_f64_e32 v[92:93], v[61:62], v[57:58]
	v_mul_f64_e32 v[59:60], s[52:53], v[146:147]
	s_delay_alu instid0(VALU_DEP_3) | instskip(SKIP_1) | instid1(VALU_DEP_3)
	v_fma_f64 v[57:58], v[25:26], s[12:13], -v[55:56]
	v_fma_f64 v[55:56], v[25:26], s[12:13], v[55:56]
	v_fma_f64 v[61:62], v[27:28], s[12:13], v[59:60]
	s_delay_alu instid0(VALU_DEP_3) | instskip(NEXT) | instid1(VALU_DEP_3)
	v_add_f64_e32 v[57:58], v[57:58], v[102:103]
	v_add_f64_e32 v[53:54], v[55:56], v[53:54]
	s_delay_alu instid0(VALU_DEP_3) | instskip(SKIP_4) | instid1(VALU_DEP_4)
	v_add_f64_e32 v[61:62], v[61:62], v[100:101]
	v_fma_f64 v[55:56], v[27:28], s[12:13], -v[59:60]
	v_mul_f64_e32 v[59:60], s[34:35], v[144:145]
	v_add_f64_e32 v[57:58], v[65:66], v[57:58]
	v_mul_f64_e32 v[65:66], s[48:49], v[142:143]
	v_add_f64_e32 v[51:52], v[55:56], v[51:52]
	v_fma_f64 v[55:56], v[21:22], s[22:23], v[63:64]
	s_delay_alu instid0(VALU_DEP_3) | instskip(NEXT) | instid1(VALU_DEP_2)
	v_fma_f64 v[100:101], v[23:24], s[22:23], v[65:66]
	v_add_f64_e32 v[53:54], v[55:56], v[53:54]
	v_fma_f64 v[55:56], v[23:24], s[22:23], -v[65:66]
	s_delay_alu instid0(VALU_DEP_3) | instskip(SKIP_1) | instid1(VALU_DEP_3)
	v_add_f64_e32 v[61:62], v[100:101], v[61:62]
	v_mul_f64_e32 v[100:101], s[42:43], v[140:141]
	v_add_f64_e32 v[51:52], v[55:56], v[51:52]
	s_delay_alu instid0(VALU_DEP_2) | instskip(SKIP_1) | instid1(VALU_DEP_2)
	v_fma_f64 v[102:103], v[16:17], s[20:21], -v[100:101]
	v_fma_f64 v[55:56], v[16:17], s[20:21], v[100:101]
	v_add_f64_e32 v[57:58], v[102:103], v[57:58]
	v_mul_f64_e32 v[102:103], s[42:43], v[138:139]
	s_delay_alu instid0(VALU_DEP_3)
	v_add_f64_e32 v[53:54], v[55:56], v[53:54]
	s_mov_b32 s43, 0x3fefdd0d
	s_mov_b32 s42, s38
	s_wait_alu 0xfffe
	v_mul_f64_e32 v[175:176], s[42:43], v[132:133]
	v_mul_f64_e32 v[177:178], s[42:43], v[130:131]
	s_delay_alu instid0(VALU_DEP_4) | instskip(SKIP_1) | instid1(VALU_DEP_2)
	v_fma_f64 v[108:109], v[18:19], s[20:21], v[102:103]
	v_fma_f64 v[55:56], v[18:19], s[20:21], -v[102:103]
	v_add_f64_e32 v[61:62], v[108:109], v[61:62]
	v_fma_f64 v[108:109], v[12:13], s[2:3], -v[171:172]
	s_delay_alu instid0(VALU_DEP_3) | instskip(SKIP_1) | instid1(VALU_DEP_3)
	v_add_f64_e32 v[51:52], v[55:56], v[51:52]
	v_fma_f64 v[55:56], v[12:13], s[2:3], v[171:172]
	v_add_f64_e32 v[57:58], v[108:109], v[57:58]
	v_fma_f64 v[108:109], v[14:15], s[2:3], v[173:174]
	s_delay_alu instid0(VALU_DEP_3) | instskip(SKIP_1) | instid1(VALU_DEP_3)
	v_add_f64_e32 v[53:54], v[55:56], v[53:54]
	v_fma_f64 v[55:56], v[14:15], s[2:3], -v[173:174]
	v_add_f64_e32 v[61:62], v[108:109], v[61:62]
	v_fma_f64 v[108:109], v[8:9], s[18:19], -v[175:176]
	s_delay_alu instid0(VALU_DEP_3) | instskip(SKIP_1) | instid1(VALU_DEP_3)
	v_add_f64_e32 v[51:52], v[55:56], v[51:52]
	v_fma_f64 v[55:56], v[8:9], s[18:19], v[175:176]
	v_add_f64_e32 v[57:58], v[108:109], v[57:58]
	v_fma_f64 v[108:109], v[10:11], s[18:19], v[177:178]
	s_delay_alu instid0(VALU_DEP_3) | instskip(SKIP_1) | instid1(VALU_DEP_3)
	v_add_f64_e32 v[53:54], v[55:56], v[53:54]
	;; [unrolled: 10-line block ×3, first 2 shown]
	v_fma_f64 v[55:56], v[6:7], s[24:25], -v[181:182]
	v_add_f64_e32 v[61:62], v[108:109], v[61:62]
	v_fma_f64 v[108:109], v[0:1], s[14:15], -v[183:184]
	s_delay_alu instid0(VALU_DEP_3) | instskip(SKIP_1) | instid1(VALU_DEP_3)
	v_add_f64_e32 v[51:52], v[55:56], v[51:52]
	v_fma_f64 v[55:56], v[0:1], s[14:15], v[183:184]
	v_add_f64_e32 v[108:109], v[108:109], v[57:58]
	v_mul_f64_e32 v[57:58], s[28:29], v[112:113]
	s_delay_alu instid0(VALU_DEP_3) | instskip(SKIP_1) | instid1(VALU_DEP_3)
	v_add_f64_e32 v[100:101], v[55:56], v[53:54]
	v_mul_f64_e32 v[55:56], s[50:51], v[148:149]
	v_fma_f64 v[110:111], v[2:3], s[14:15], v[57:58]
	v_fma_f64 v[57:58], v[2:3], s[14:15], -v[57:58]
	s_delay_alu instid0(VALU_DEP_2) | instskip(NEXT) | instid1(VALU_DEP_2)
	v_add_f64_e32 v[110:111], v[110:111], v[61:62]
	v_add_f64_e32 v[102:103], v[57:58], v[51:52]
	v_fma_f64 v[51:52], v[25:26], s[16:17], -v[55:56]
	v_mul_f64_e32 v[57:58], s[50:51], v[146:147]
	v_fma_f64 v[61:62], v[21:22], s[24:25], -v[59:60]
	v_fma_f64 v[55:56], v[25:26], s[16:17], v[55:56]
	v_fma_f64 v[59:60], v[21:22], s[24:25], v[59:60]
	v_add_f64_e32 v[51:52], v[51:52], v[164:165]
	v_fma_f64 v[53:54], v[27:28], s[16:17], v[57:58]
	v_fma_f64 v[57:58], v[27:28], s[16:17], -v[57:58]
	v_add_f64_e32 v[55:56], v[55:56], v[160:161]
	s_delay_alu instid0(VALU_DEP_4) | instskip(SKIP_4) | instid1(VALU_DEP_4)
	v_add_f64_e32 v[51:52], v[61:62], v[51:52]
	v_mul_f64_e32 v[61:62], s[34:35], v[142:143]
	v_add_f64_e32 v[53:54], v[53:54], v[162:163]
	v_add_f64_e32 v[57:58], v[57:58], v[158:159]
	;; [unrolled: 1-line block ×3, first 2 shown]
	v_fma_f64 v[63:64], v[23:24], s[24:25], v[61:62]
	v_fma_f64 v[59:60], v[23:24], s[24:25], -v[61:62]
	s_delay_alu instid0(VALU_DEP_2) | instskip(SKIP_1) | instid1(VALU_DEP_3)
	v_add_f64_e32 v[53:54], v[63:64], v[53:54]
	v_mul_f64_e32 v[63:64], s[30:31], v[140:141]
	v_add_f64_e32 v[57:58], v[59:60], v[57:58]
	s_delay_alu instid0(VALU_DEP_2) | instskip(SKIP_1) | instid1(VALU_DEP_2)
	v_fma_f64 v[65:66], v[16:17], s[12:13], -v[63:64]
	v_fma_f64 v[59:60], v[16:17], s[12:13], v[63:64]
	v_add_f64_e32 v[51:52], v[65:66], v[51:52]
	v_mul_f64_e32 v[65:66], s[30:31], v[138:139]
	s_delay_alu instid0(VALU_DEP_3) | instskip(NEXT) | instid1(VALU_DEP_2)
	v_add_f64_e32 v[55:56], v[59:60], v[55:56]
	v_fma_f64 v[162:163], v[18:19], s[12:13], v[65:66]
	v_fma_f64 v[59:60], v[18:19], s[12:13], -v[65:66]
	s_delay_alu instid0(VALU_DEP_2) | instskip(SKIP_1) | instid1(VALU_DEP_3)
	v_add_f64_e32 v[53:54], v[162:163], v[53:54]
	v_mul_f64_e32 v[162:163], s[42:43], v[136:137]
	v_add_f64_e32 v[57:58], v[59:60], v[57:58]
	s_delay_alu instid0(VALU_DEP_2) | instskip(SKIP_1) | instid1(VALU_DEP_2)
	v_fma_f64 v[164:165], v[12:13], s[18:19], -v[162:163]
	v_fma_f64 v[59:60], v[12:13], s[18:19], v[162:163]
	v_add_f64_e32 v[51:52], v[164:165], v[51:52]
	v_mul_f64_e32 v[164:165], s[42:43], v[134:135]
	s_delay_alu instid0(VALU_DEP_3) | instskip(NEXT) | instid1(VALU_DEP_2)
	v_add_f64_e32 v[55:56], v[59:60], v[55:56]
	;; [unrolled: 13-line block ×4, first 2 shown]
	v_fma_f64 v[179:180], v[6:7], s[2:3], v[177:178]
	v_fma_f64 v[59:60], v[6:7], s[2:3], -v[177:178]
	s_delay_alu instid0(VALU_DEP_2) | instskip(SKIP_1) | instid1(VALU_DEP_3)
	v_add_f64_e32 v[53:54], v[179:180], v[53:54]
	v_mul_f64_e32 v[179:180], s[44:45], v[124:125]
	v_add_f64_e32 v[57:58], v[59:60], v[57:58]
	s_delay_alu instid0(VALU_DEP_2) | instskip(SKIP_1) | instid1(VALU_DEP_2)
	v_fma_f64 v[181:182], v[0:1], s[20:21], -v[179:180]
	v_fma_f64 v[59:60], v[0:1], s[20:21], v[179:180]
	v_add_f64_e32 v[51:52], v[181:182], v[51:52]
	v_mul_f64_e32 v[181:182], s[44:45], v[112:113]
	s_delay_alu instid0(VALU_DEP_3) | instskip(SKIP_1) | instid1(VALU_DEP_3)
	v_add_f64_e32 v[55:56], v[59:60], v[55:56]
	v_mul_f64_e32 v[59:60], s[44:45], v[148:149]
	v_fma_f64 v[61:62], v[2:3], s[20:21], -v[181:182]
	v_fma_f64 v[183:184], v[2:3], s[20:21], v[181:182]
	v_mul_f64_e32 v[181:182], s[26:27], v[124:125]
	v_mul_f64_e32 v[124:125], s[42:43], v[124:125]
	s_delay_alu instid0(VALU_DEP_4)
	v_add_f64_e32 v[57:58], v[61:62], v[57:58]
	v_fma_f64 v[61:62], v[25:26], s[20:21], -v[59:60]
	v_fma_f64 v[59:60], v[25:26], s[20:21], v[59:60]
	v_add_f64_e32 v[53:54], v[183:184], v[53:54]
	v_mul_f64_e32 v[183:184], s[26:27], v[112:113]
	v_mul_f64_e32 v[112:113], s[42:43], v[112:113]
	v_add_f64_e32 v[49:50], v[61:62], v[49:50]
	v_mul_f64_e32 v[61:62], s[44:45], v[146:147]
	v_add_f64_e32 v[45:46], v[59:60], v[45:46]
	s_delay_alu instid0(VALU_DEP_2) | instskip(SKIP_2) | instid1(VALU_DEP_3)
	v_fma_f64 v[63:64], v[27:28], s[20:21], v[61:62]
	v_fma_f64 v[59:60], v[27:28], s[20:21], -v[61:62]
	v_fma_f64 v[61:62], v[2:3], s[16:17], -v[183:184]
	v_add_f64_e32 v[47:48], v[63:64], v[47:48]
	v_mul_f64_e32 v[63:64], s[38:39], v[144:145]
	s_delay_alu instid0(VALU_DEP_4) | instskip(SKIP_1) | instid1(VALU_DEP_3)
	v_add_f64_e32 v[43:44], v[59:60], v[43:44]
	v_mul_f64_e32 v[144:145], s[30:31], v[144:145]
	v_fma_f64 v[65:66], v[21:22], s[18:19], -v[63:64]
	v_fma_f64 v[59:60], v[21:22], s[18:19], v[63:64]
	v_mul_f64_e32 v[63:64], s[46:47], v[148:149]
	s_delay_alu instid0(VALU_DEP_3) | instskip(SKIP_1) | instid1(VALU_DEP_4)
	v_add_f64_e32 v[49:50], v[65:66], v[49:50]
	v_mul_f64_e32 v[65:66], s[38:39], v[142:143]
	v_add_f64_e32 v[45:46], v[59:60], v[45:46]
	v_mul_f64_e32 v[142:143], s[30:31], v[142:143]
	s_delay_alu instid0(VALU_DEP_3)
	v_fma_f64 v[158:159], v[23:24], s[18:19], v[65:66]
	v_fma_f64 v[59:60], v[23:24], s[18:19], -v[65:66]
	v_mul_f64_e32 v[65:66], s[46:47], v[146:147]
	v_fma_f64 v[146:147], v[21:22], s[12:13], -v[144:145]
	v_fma_f64 v[144:145], v[21:22], s[12:13], v[144:145]
	v_fma_f64 v[21:22], v[21:22], s[20:21], v[37:38]
	v_add_f64_e32 v[47:48], v[158:159], v[47:48]
	v_mul_f64_e32 v[158:159], s[54:55], v[140:141]
	v_add_f64_e32 v[43:44], v[59:60], v[43:44]
	v_mul_f64_e32 v[140:141], s[48:49], v[140:141]
	s_delay_alu instid0(VALU_DEP_3) | instskip(SKIP_1) | instid1(VALU_DEP_2)
	v_fma_f64 v[160:161], v[16:17], s[14:15], -v[158:159]
	v_fma_f64 v[59:60], v[16:17], s[14:15], v[158:159]
	v_add_f64_e32 v[49:50], v[160:161], v[49:50]
	v_mul_f64_e32 v[160:161], s[54:55], v[138:139]
	s_delay_alu instid0(VALU_DEP_3) | instskip(SKIP_1) | instid1(VALU_DEP_3)
	v_add_f64_e32 v[45:46], v[59:60], v[45:46]
	v_mul_f64_e32 v[138:139], s[48:49], v[138:139]
	v_fma_f64 v[162:163], v[18:19], s[14:15], v[160:161]
	v_fma_f64 v[59:60], v[18:19], s[14:15], -v[160:161]
	s_delay_alu instid0(VALU_DEP_2) | instskip(SKIP_1) | instid1(VALU_DEP_3)
	v_add_f64_e32 v[47:48], v[162:163], v[47:48]
	v_mul_f64_e32 v[162:163], s[34:35], v[136:137]
	v_add_f64_e32 v[43:44], v[59:60], v[43:44]
	v_mul_f64_e32 v[136:137], s[28:29], v[136:137]
	s_delay_alu instid0(VALU_DEP_3) | instskip(SKIP_1) | instid1(VALU_DEP_2)
	v_fma_f64 v[164:165], v[12:13], s[24:25], -v[162:163]
	v_fma_f64 v[59:60], v[12:13], s[24:25], v[162:163]
	v_add_f64_e32 v[49:50], v[164:165], v[49:50]
	v_mul_f64_e32 v[164:165], s[34:35], v[134:135]
	s_delay_alu instid0(VALU_DEP_3) | instskip(SKIP_1) | instid1(VALU_DEP_3)
	v_add_f64_e32 v[45:46], v[59:60], v[45:46]
	v_mul_f64_e32 v[134:135], s[28:29], v[134:135]
	v_fma_f64 v[171:172], v[14:15], s[24:25], v[164:165]
	v_fma_f64 v[59:60], v[14:15], s[24:25], -v[164:165]
	s_delay_alu instid0(VALU_DEP_2) | instskip(SKIP_1) | instid1(VALU_DEP_3)
	;; [unrolled: 15-line block ×3, first 2 shown]
	v_add_f64_e32 v[47:48], v[175:176], v[47:48]
	v_mul_f64_e32 v[175:176], s[48:49], v[128:129]
	v_add_f64_e32 v[43:44], v[59:60], v[43:44]
	v_mul_f64_e32 v[128:129], s[26:27], v[128:129]
	s_delay_alu instid0(VALU_DEP_3) | instskip(SKIP_1) | instid1(VALU_DEP_2)
	v_fma_f64 v[177:178], v[4:5], s[22:23], -v[175:176]
	v_fma_f64 v[59:60], v[4:5], s[22:23], v[175:176]
	v_add_f64_e32 v[49:50], v[177:178], v[49:50]
	v_mul_f64_e32 v[177:178], s[48:49], v[126:127]
	s_delay_alu instid0(VALU_DEP_3) | instskip(SKIP_1) | instid1(VALU_DEP_3)
	v_add_f64_e32 v[45:46], v[59:60], v[45:46]
	v_mul_f64_e32 v[126:127], s[26:27], v[126:127]
	v_fma_f64 v[59:60], v[6:7], s[22:23], -v[177:178]
	v_fma_f64 v[179:180], v[6:7], s[22:23], v[177:178]
	s_delay_alu instid0(VALU_DEP_2) | instskip(SKIP_1) | instid1(VALU_DEP_3)
	v_add_f64_e32 v[59:60], v[59:60], v[43:44]
	v_fma_f64 v[43:44], v[0:1], s[16:17], v[181:182]
	v_add_f64_e32 v[179:180], v[179:180], v[47:48]
	v_fma_f64 v[47:48], v[0:1], s[16:17], -v[181:182]
	s_delay_alu instid0(VALU_DEP_3)
	v_add_f64_e32 v[43:44], v[43:44], v[45:46]
	v_add_f64_e32 v[45:46], v[61:62], v[59:60]
	v_fma_f64 v[59:60], v[25:26], s[24:25], -v[63:64]
	v_fma_f64 v[61:62], v[27:28], s[24:25], v[65:66]
	v_fma_f64 v[63:64], v[25:26], s[24:25], v[63:64]
	v_fma_f64 v[65:66], v[27:28], s[24:25], -v[65:66]
	v_fma_f64 v[25:26], v[25:26], s[22:23], v[33:34]
	v_fma_f64 v[27:28], v[27:28], s[22:23], -v[35:36]
	v_add_f64_e32 v[47:48], v[47:48], v[49:50]
	v_fma_f64 v[49:50], v[2:3], s[16:17], v[183:184]
	v_add_f64_e32 v[59:60], v[59:60], v[156:157]
	v_add_f64_e32 v[61:62], v[61:62], v[154:155]
	;; [unrolled: 1-line block ×8, first 2 shown]
	v_fma_f64 v[146:147], v[23:24], s[12:13], v[142:143]
	v_fma_f64 v[142:143], v[23:24], s[12:13], -v[142:143]
	v_fma_f64 v[23:24], v[23:24], s[20:21], -v[39:40]
	v_add_f64_e32 v[21:22], v[21:22], v[25:26]
	v_add_f64_e32 v[63:64], v[144:145], v[63:64]
	;; [unrolled: 1-line block ×3, first 2 shown]
	v_fma_f64 v[146:147], v[16:17], s[22:23], -v[140:141]
	v_fma_f64 v[140:141], v[16:17], s[22:23], v[140:141]
	v_fma_f64 v[16:17], v[16:17], s[18:19], v[41:42]
	v_add_f64_e32 v[23:24], v[23:24], v[27:28]
	v_add_f64_e32 v[65:66], v[142:143], v[65:66]
	;; [unrolled: 1-line block ×3, first 2 shown]
	v_fma_f64 v[146:147], v[18:19], s[22:23], v[138:139]
	v_fma_f64 v[138:139], v[18:19], s[22:23], -v[138:139]
	v_fma_f64 v[18:19], v[18:19], s[18:19], -v[104:105]
	v_add_f64_e32 v[16:17], v[16:17], v[21:22]
	v_add_f64_e32 v[63:64], v[140:141], v[63:64]
                                        ; implicit-def: $vgpr140_vgpr141
	v_add_f64_e32 v[61:62], v[146:147], v[61:62]
	v_fma_f64 v[146:147], v[12:13], s[14:15], -v[136:137]
	v_fma_f64 v[136:137], v[12:13], s[14:15], v[136:137]
	v_fma_f64 v[12:13], v[12:13], s[16:17], v[106:107]
	v_add_f64_e32 v[18:19], v[18:19], v[23:24]
	v_add_f64_e32 v[65:66], v[138:139], v[65:66]
	v_add_f64_e32 v[59:60], v[146:147], v[59:60]
	v_fma_f64 v[146:147], v[14:15], s[14:15], v[134:135]
	v_fma_f64 v[134:135], v[14:15], s[14:15], -v[134:135]
	v_fma_f64 v[14:15], v[14:15], s[16:17], -v[114:115]
	v_add_f64_e32 v[12:13], v[12:13], v[16:17]
	v_add_f64_e32 v[63:64], v[136:137], v[63:64]
	v_add_f64_e32 v[61:62], v[146:147], v[61:62]
	v_fma_f64 v[146:147], v[8:9], s[20:21], -v[132:133]
	v_fma_f64 v[132:133], v[8:9], s[20:21], v[132:133]
	v_fma_f64 v[8:9], v[8:9], s[14:15], v[116:117]
	v_add_f64_e32 v[14:15], v[14:15], v[18:19]
	v_add_f64_e32 v[65:66], v[134:135], v[65:66]
	v_add_f64_e32 v[59:60], v[146:147], v[59:60]
	v_fma_f64 v[146:147], v[10:11], s[20:21], v[130:131]
	v_fma_f64 v[130:131], v[10:11], s[20:21], -v[130:131]
	v_fma_f64 v[10:11], v[10:11], s[14:15], -v[118:119]
	v_add_f64_e32 v[8:9], v[8:9], v[12:13]
	v_add_f64_e32 v[63:64], v[132:133], v[63:64]
	;; [unrolled: 12-line block ×4, first 2 shown]
	v_mul_lo_u16 v0, v170, 17
	s_load_b64 s[2:3], s[0:1], 0x38
	s_delay_alu instid0(VALU_DEP_1) | instskip(NEXT) | instid1(VALU_DEP_1)
	v_and_b32_e32 v0, 0xffff, v0
	v_lshl_add_u32 v67, v0, 4, v185
	v_add_f64_e32 v[61:62], v[146:147], v[61:62]
	v_add_f64_e32 v[65:66], v[112:113], v[65:66]
	;; [unrolled: 1-line block ×3, first 2 shown]
	ds_store_b128 v67, v[68:71] offset:16
	ds_store_b128 v67, v[80:83] offset:32
	;; [unrolled: 1-line block ×15, first 2 shown]
	ds_store_b128 v67, v[72:75]
	ds_store_b128 v67, v[104:107] offset:256
	global_wb scope:SCOPE_SE
	s_wait_dscnt 0x0
	s_wait_kmcnt 0x0
	s_barrier_signal -1
	s_barrier_wait -1
	global_inv scope:SCOPE_SE
	ds_load_b128 v[108:111], v20
	ds_load_b128 v[144:147], v20 offset:9248
	ds_load_b128 v[112:115], v20 offset:1088
	;; [unrolled: 1-line block ×15, first 2 shown]
	s_and_saveexec_b32 s0, vcc_lo
	s_cbranch_execz .LBB0_3
; %bb.2:
	ds_load_b128 v[104:107], v20 offset:8704
	ds_load_b128 v[140:143], v20 offset:17952
.LBB0_3:
	s_wait_alu 0xfffe
	s_or_b32 exec_lo, exec_lo, s0
	scratch_load_b32 v12, off, off          ; 4-byte Folded Reload
	s_wait_loadcnt 0x0
	v_add_nc_u16 v0, v12, 0x44
	v_add_nc_u16 v2, v12, 0x88
	v_and_b32_e32 v3, 0xff, v12
	v_add_co_u32 v1, null, 0xcc, v12
	s_delay_alu instid0(VALU_DEP_4) | instskip(NEXT) | instid1(VALU_DEP_4)
	v_and_b32_e32 v4, 0xff, v0
	v_and_b32_e32 v6, 0xff, v2
	s_delay_alu instid0(VALU_DEP_4) | instskip(SKIP_1) | instid1(VALU_DEP_4)
	v_mul_lo_u16 v3, 0xf1, v3
	v_add_co_u32 v5, null, 0x110, v12
	v_mul_lo_u16 v4, 0xf1, v4
	s_delay_alu instid0(VALU_DEP_4) | instskip(NEXT) | instid1(VALU_DEP_4)
	v_mul_lo_u16 v6, 0xf1, v6
	v_lshrrev_b16 v68, 12, v3
	v_add_co_u32 v7, null, 0x154, v12
	s_delay_alu instid0(VALU_DEP_4) | instskip(NEXT) | instid1(VALU_DEP_4)
	v_lshrrev_b16 v69, 12, v4
	v_lshrrev_b16 v70, 12, v6
	s_delay_alu instid0(VALU_DEP_4) | instskip(SKIP_1) | instid1(VALU_DEP_4)
	v_mul_lo_u16 v4, v68, 17
	v_add_co_u32 v3, null, 0x198, v12
	v_mul_lo_u16 v6, v69, 17
	s_delay_alu instid0(VALU_DEP_4) | instskip(NEXT) | instid1(VALU_DEP_4)
	v_mul_lo_u16 v9, v70, 17
	v_sub_nc_u16 v71, v12, v4
	v_and_b32_e32 v4, 0xffff, v1
	v_add_co_u32 v8, null, 0x1dc, v12
	v_sub_nc_u16 v0, v0, v6
	v_sub_nc_u16 v2, v2, v9
	v_and_b32_e32 v9, 0xff, v71
	v_and_b32_e32 v6, 0xffff, v5
	;; [unrolled: 1-line block ×5, first 2 shown]
	v_lshlrev_b32_e32 v2, 4, v9
	v_and_b32_e32 v0, 0xffff, v7
	v_mul_u32_u24_e32 v4, 0xf0f1, v4
	v_lshlrev_b32_e32 v9, 4, v72
	v_mul_u32_u24_e32 v6, 0xf0f1, v6
	v_lshlrev_b32_e32 v11, 4, v73
	s_clause 0x1
	global_load_b128 v[35:38], v2, s[10:11]
	global_load_b128 v[39:42], v9, s[10:11]
	v_and_b32_e32 v2, 0xffff, v8
	v_mul_u32_u24_e32 v0, 0xf0f1, v0
	v_lshrrev_b32_e32 v74, 20, v4
	v_mul_u32_u24_e32 v4, 0xf0f1, v10
	v_lshrrev_b32_e32 v75, 20, v6
	;; [unrolled: 2-line block ×3, first 2 shown]
	v_mul_lo_u16 v6, v74, 17
	v_lshrrev_b32_e32 v77, 20, v4
	v_mul_lo_u16 v9, v75, 17
	v_lshrrev_b32_e32 v78, 20, v2
	v_mul_lo_u16 v0, v76, 17
	v_sub_nc_u16 v79, v1, v6
	v_mul_lo_u16 v1, v77, 17
	v_sub_nc_u16 v80, v5, v9
	;; [unrolled: 2-line block ×3, first 2 shown]
	v_and_b32_e32 v4, 0xffff, v79
	v_sub_nc_u16 v82, v3, v1
	v_and_b32_e32 v5, 0xffff, v80
	v_sub_nc_u16 v83, v8, v2
	v_and_b32_e32 v2, 0xffff, v81
	v_lshlrev_b32_e32 v0, 4, v4
	v_and_b32_e32 v3, 0xffff, v82
	v_lshlrev_b32_e32 v1, 4, v5
	v_and_b32_e32 v4, 0xffff, v83
	s_clause 0x1
	global_load_b128 v[100:103], v11, s[10:11]
	global_load_b128 v[92:95], v0, s[10:11]
	v_lshlrev_b32_e32 v0, 4, v2
	v_lshlrev_b32_e32 v2, 4, v3
	v_lshlrev_b32_e32 v3, 4, v4
	s_clause 0x3
	global_load_b128 v[96:99], v1, s[10:11]
	global_load_b128 v[88:91], v0, s[10:11]
	;; [unrolled: 1-line block ×4, first 2 shown]
	v_add_co_u32 v2, s0, 0x220, v12
	s_wait_alu 0xf1ff
	v_add_co_ci_u32_e64 v3, null, 0, 0, s0
	s_delay_alu instid0(VALU_DEP_2) | instskip(NEXT) | instid1(VALU_DEP_1)
	v_and_b32_e32 v0, 0xffff, v2
	v_mul_u32_u24_e32 v0, 0xf0f1, v0
	s_delay_alu instid0(VALU_DEP_1) | instskip(SKIP_2) | instid1(VALU_DEP_1)
	v_lshrrev_b32_e32 v0, 20, v0
	scratch_store_b32 off, v0, off offset:288 ; 4-byte Folded Spill
	v_mul_lo_u16 v0, v0, 17
	v_sub_nc_u16 v0, v2, v0
	scratch_store_b32 off, v0, off offset:296 ; 4-byte Folded Spill
	v_and_b32_e32 v0, 0xffff, v0
	s_delay_alu instid0(VALU_DEP_1)
	v_lshlrev_b32_e32 v0, 4, v0
	global_load_b128 v[176:179], v0, s[10:11]
	s_wait_loadcnt 0x8
	scratch_store_b128 off, v[35:38], off offset:336 ; 16-byte Folded Spill
	s_wait_dscnt 0xe
	v_mul_f64_e32 v[0:1], v[146:147], v[37:38]
	v_mul_f64_e32 v[4:5], v[144:145], v[37:38]
	s_wait_loadcnt_dscnt 0x70c
	v_mul_f64_e32 v[6:7], v[150:151], v[41:42]
	v_mul_f64_e32 v[8:9], v[148:149], v[41:42]
	scratch_store_b128 off, v[39:42], off offset:320 ; 16-byte Folded Spill
	s_wait_loadcnt_dscnt 0x60a
	v_mul_f64_e32 v[10:11], v[154:155], v[102:103]
	v_mul_f64_e32 v[12:13], v[152:153], v[102:103]
	s_wait_loadcnt_dscnt 0x508
	v_mul_f64_e32 v[14:15], v[158:159], v[94:95]
	v_mul_f64_e32 v[16:17], v[156:157], v[94:95]
	;; [unrolled: 3-line block ×6, first 2 shown]
	v_fma_f64 v[0:1], v[144:145], v[35:36], -v[0:1]
	v_fma_f64 v[35:36], v[146:147], v[35:36], v[4:5]
	scratch_store_b128 off, v[63:66], off offset:352 ; 16-byte Folded Spill
	v_fma_f64 v[37:38], v[148:149], v[39:40], -v[6:7]
	v_fma_f64 v[39:40], v[150:151], v[39:40], v[8:9]
	v_fma_f64 v[41:42], v[152:153], v[100:101], -v[10:11]
	v_fma_f64 v[43:44], v[154:155], v[100:101], v[12:13]
	;; [unrolled: 2-line block ×7, first 2 shown]
	s_wait_loadcnt 0x0
	scratch_store_b128 off, v[176:179], off offset:304 ; 16-byte Folded Spill
	v_mul_f64_e32 v[65:66], v[142:143], v[178:179]
	v_mul_f64_e32 v[144:145], v[140:141], v[178:179]
	v_add_f64_e64 v[4:5], v[108:109], -v[0:1]
	v_add_f64_e64 v[6:7], v[110:111], -v[35:36]
	;; [unrolled: 1-line block ×4, first 2 shown]
	v_and_b32_e32 v37, 0xffff, v69
	v_and_b32_e32 v38, 0xffff, v70
	v_mad_u16 v39, v68, 34, v71
	v_mad_u16 v71, v74, 34, v79
	;; [unrolled: 1-line block ×3, first 2 shown]
	v_mul_u32_u24_e32 v68, 34, v37
	v_mul_u32_u24_e32 v69, 34, v38
	v_and_b32_e32 v70, 0xff, v39
	v_mad_u16 v75, v76, 34, v81
	v_mov_b32_e32 v76, v247
	global_wb scope:SCOPE_SE
	s_wait_storecnt 0x0
	s_barrier_signal -1
	s_barrier_wait -1
	global_inv scope:SCOPE_SE
	v_add_f64_e64 v[12:13], v[116:117], -v[41:42]
	v_add_f64_e64 v[14:15], v[118:119], -v[43:44]
	;; [unrolled: 1-line block ×12, first 2 shown]
	v_fma_f64 v[0:1], v[140:141], v[176:177], -v[65:66]
	v_fma_f64 v[65:66], v[142:143], v[176:177], v[144:145]
	v_fma_f64 v[37:38], v[108:109], 2.0, -v[4:5]
	v_fma_f64 v[39:40], v[110:111], 2.0, -v[6:7]
	;; [unrolled: 1-line block ×16, first 2 shown]
	v_add_f64_e64 v[204:205], v[104:105], -v[0:1]
	v_add_f64_e64 v[206:207], v[106:107], -v[65:66]
	v_mad_u16 v0, v77, 34, v82
	v_mad_u16 v1, v78, 34, v83
	v_add_nc_u32_e32 v65, v68, v72
	v_lshl_add_u32 v77, v70, 4, v76
	v_add_nc_u32_e32 v66, v69, v73
	v_and_b32_e32 v68, 0xffff, v71
	v_and_b32_e32 v69, 0xffff, v74
	;; [unrolled: 1-line block ×5, first 2 shown]
	v_lshl_add_u32 v73, v65, 4, v76
	v_mov_b32_e32 v65, v247
	v_lshl_add_u32 v72, v66, 4, v76
	ds_store_b128 v77, v[37:40]
	scratch_store_b32 off, v77, off offset:424 ; 4-byte Folded Spill
	ds_store_b128 v77, v[4:7] offset:272
	ds_store_b128 v73, v[41:44]
	v_lshl_add_u32 v71, v68, 4, v65
	v_lshl_add_u32 v69, v69, 4, v65
	;; [unrolled: 1-line block ×5, first 2 shown]
	scratch_store_b32 off, v73, off offset:416 ; 4-byte Folded Spill
	ds_store_b128 v73, v[8:11] offset:272
	ds_store_b128 v72, v[45:48]
	scratch_store_b32 off, v72, off offset:408 ; 4-byte Folded Spill
	ds_store_b128 v72, v[12:15] offset:272
	ds_store_b128 v71, v[49:52]
	;; [unrolled: 3-line block ×6, first 2 shown]
	scratch_store_b32 off, v0, off offset:368 ; 4-byte Folded Spill
	ds_store_b128 v0, v[33:36] offset:272
	s_and_saveexec_b32 s0, vcc_lo
	s_cbranch_execz .LBB0_5
; %bb.4:
	s_clause 0x1
	scratch_load_b32 v0, off, off offset:288
	scratch_load_b32 v1, off, off offset:296
	v_fma_f64 v[6:7], v[106:107], 2.0, -v[206:207]
	v_fma_f64 v[4:5], v[104:105], 2.0, -v[204:205]
	s_wait_loadcnt 0x0
	v_mad_u16 v0, v0, 34, v1
	s_delay_alu instid0(VALU_DEP_1) | instskip(NEXT) | instid1(VALU_DEP_1)
	v_and_b32_e32 v0, 0xffff, v0
	v_lshl_add_u32 v0, v0, 4, v65
	ds_store_b128 v0, v[4:7]
	ds_store_b128 v0, v[204:207] offset:272
.LBB0_5:
	s_wait_alu 0xfffe
	s_or_b32 exec_lo, exec_lo, s0
	global_wb scope:SCOPE_SE
	s_wait_storecnt_dscnt 0x0
	s_barrier_signal -1
	s_barrier_wait -1
	global_inv scope:SCOPE_SE
	ds_load_b128 v[172:175], v20
	ds_load_b128 v[8:11], v20 offset:1088
	ds_load_b128 v[12:15], v20 offset:2176
	;; [unrolled: 1-line block ×16, first 2 shown]
	scratch_load_b32 v68, off, off          ; 4-byte Folded Reload
	v_add_co_u32 v0, s0, s8, v244
	s_wait_alu 0xf1ff
	v_add_co_ci_u32_e64 v1, null, s9, 0, s0
	s_mov_b32 s40, 0x5d8e7cdc
	s_mov_b32 s46, 0x2a9d6da3
	s_mov_b32 s48, 0x7c9e640b
	s_mov_b32 s42, 0xeb564b22
	s_mov_b32 s16, 0x923c349f
	s_mov_b32 s22, 0x6c9a05f6
	s_mov_b32 s34, 0xacd6c6b4
	s_mov_b32 s41, 0xbfd71e95
	s_mov_b32 s47, 0xbfe58eea
	s_mov_b32 s49, 0xbfeca52d
	s_mov_b32 s43, 0xbfefdd0d
	s_mov_b32 s17, 0xbfeec746
	s_mov_b32 s23, 0xbfe9895b
	s_mov_b32 s35, 0xbfc7851a
	s_mov_b32 s18, 0x75d4884
	s_mov_b32 s14, 0x2b2883cd
	s_mov_b32 s12, 0xc61f0d01
	s_mov_b32 s20, 0x6ed5f1bb
	s_mov_b32 s28, 0x910ea3b9
	s_mov_b32 s36, 0x7faef3
	s_mov_b32 s19, 0x3fe7a5f6
	s_mov_b32 s15, 0x3fdc86fa
	s_mov_b32 s13, 0xbfd183b1
	s_mov_b32 s21, 0xbfe348c8
	s_mov_b32 s29, 0xbfeb34fa
	s_mov_b32 s37, 0xbfef7484
	s_mov_b32 s52, s30
	s_wait_alu 0xfffe
	s_mov_b32 s50, s16
	s_mov_b32 s27, 0x3feca52d
	;; [unrolled: 1-line block ×8, first 2 shown]
	s_wait_loadcnt 0x0
	v_add_co_u32 v4, s0, 0xffffffde, v68
	s_wait_alu 0xf1ff
	v_add_co_ci_u32_e64 v5, null, 0, -1, s0
	s_delay_alu instid0(VALU_DEP_2) | instskip(NEXT) | instid1(VALU_DEP_2)
	v_cndmask_b32_e32 v6, v4, v68, vcc_lo
	v_cndmask_b32_e64 v7, v5, 0, vcc_lo
	s_delay_alu instid0(VALU_DEP_1) | instskip(NEXT) | instid1(VALU_DEP_1)
	v_lshlrev_b64_e32 v[21:22], 8, v[6:7]
	v_add_co_u32 v25, s0, s10, v21
	s_wait_alu 0xf1ff
	s_delay_alu instid0(VALU_DEP_2)
	v_add_co_ci_u32_e64 v26, s0, s11, v22, s0
	s_clause 0xb
	global_load_b128 v[104:107], v[25:26], off offset:320
	global_load_b128 v[112:115], v[25:26], off offset:304
	;; [unrolled: 1-line block ×12, first 2 shown]
	s_mov_b32 s0, 0x3259b75e
	s_mov_b32 s1, 0x3fb79ee6
	s_wait_loadcnt_dscnt 0x80f
	v_mul_f64_e32 v[21:22], v[10:11], v[126:127]
	s_delay_alu instid0(VALU_DEP_1) | instskip(SKIP_1) | instid1(VALU_DEP_1)
	v_fma_f64 v[212:213], v[8:9], v[124:125], -v[21:22]
	v_mul_f64_e32 v[7:8], v[8:9], v[126:127]
	v_fma_f64 v[214:215], v[10:11], v[124:125], v[7:8]
	s_wait_dscnt 0xe
	v_mul_f64_e32 v[7:8], v[14:15], v[118:119]
	s_wait_loadcnt_dscnt 0x7
	v_mul_f64_e32 v[9:10], v[57:58], v[158:159]
	s_delay_alu instid0(VALU_DEP_2) | instskip(SKIP_1) | instid1(VALU_DEP_1)
	v_fma_f64 v[35:36], v[12:13], v[116:117], -v[7:8]
	v_mul_f64_e32 v[7:8], v[12:13], v[118:119]
	v_fma_f64 v[37:38], v[14:15], v[116:117], v[7:8]
	v_mul_f64_e32 v[7:8], v[18:19], v[114:115]
	v_fma_f64 v[13:14], v[55:56], v[156:157], -v[9:10]
	v_mul_f64_e32 v[9:10], v[55:56], v[158:159]
	s_delay_alu instid0(VALU_DEP_3) | instskip(SKIP_1) | instid1(VALU_DEP_3)
	v_fma_f64 v[33:34], v[16:17], v[112:113], -v[7:8]
	v_mul_f64_e32 v[7:8], v[16:17], v[114:115]
	v_fma_f64 v[9:10], v[57:58], v[156:157], v[9:10]
	s_delay_alu instid0(VALU_DEP_2) | instskip(SKIP_3) | instid1(VALU_DEP_2)
	v_fma_f64 v[27:28], v[18:19], v[112:113], v[7:8]
	v_mul_f64_e32 v[7:8], v[31:32], v[106:107]
	s_wait_dscnt 0x6
	v_mul_f64_e32 v[17:18], v[61:62], v[150:151]
	v_fma_f64 v[23:24], v[29:30], v[104:105], -v[7:8]
	v_mul_f64_e32 v[7:8], v[29:30], v[106:107]
	s_wait_dscnt 0x5
	v_mul_f64_e32 v[29:30], v[65:66], v[142:143]
	s_delay_alu instid0(VALU_DEP_4) | instskip(SKIP_1) | instid1(VALU_DEP_4)
	v_fma_f64 v[176:177], v[59:60], v[148:149], -v[17:18]
	v_mul_f64_e32 v[17:18], v[59:60], v[150:151]
	v_fma_f64 v[194:195], v[31:32], v[104:105], v[7:8]
	v_mul_f64_e32 v[7:8], v[41:42], v[146:147]
	v_fma_f64 v[184:185], v[63:64], v[140:141], -v[29:30]
	v_mul_f64_e32 v[29:30], v[63:64], v[142:143]
	v_fma_f64 v[17:18], v[61:62], v[148:149], v[17:18]
	s_delay_alu instid0(VALU_DEP_4) | instskip(SKIP_1) | instid1(VALU_DEP_4)
	v_fma_f64 v[190:191], v[39:40], v[144:145], -v[7:8]
	v_mul_f64_e32 v[7:8], v[39:40], v[146:147]
	v_fma_f64 v[180:181], v[65:66], v[140:141], v[29:30]
	s_wait_dscnt 0x4
	v_mul_f64_e32 v[29:30], v[110:111], v[134:135]
	s_delay_alu instid0(VALU_DEP_3) | instskip(SKIP_1) | instid1(VALU_DEP_3)
	v_fma_f64 v[186:187], v[41:42], v[144:145], v[7:8]
	v_mul_f64_e32 v[7:8], v[45:46], v[138:139]
	v_fma_f64 v[192:193], v[108:109], v[132:133], -v[29:30]
	v_mul_f64_e32 v[29:30], v[108:109], v[134:135]
	s_delay_alu instid0(VALU_DEP_3) | instskip(SKIP_1) | instid1(VALU_DEP_3)
	v_fma_f64 v[182:183], v[43:44], v[136:137], -v[7:8]
	v_mul_f64_e32 v[7:8], v[43:44], v[138:139]
	v_fma_f64 v[188:189], v[110:111], v[132:133], v[29:30]
	s_clause 0x3
	global_load_b128 v[108:111], v[25:26], off offset:512
	global_load_b128 v[152:155], v[25:26], off offset:496
	global_load_b128 v[160:163], v[25:26], off offset:480
	global_load_b128 v[164:167], v[25:26], off offset:464
	global_wb scope:SCOPE_SE
	s_wait_loadcnt_dscnt 0x0
	s_barrier_signal -1
	s_barrier_wait -1
	global_inv scope:SCOPE_SE
	v_fma_f64 v[178:179], v[45:46], v[136:137], v[7:8]
	v_mul_f64_e32 v[7:8], v[49:50], v[130:131]
	s_delay_alu instid0(VALU_DEP_1) | instskip(SKIP_1) | instid1(VALU_DEP_1)
	v_fma_f64 v[21:22], v[47:48], v[128:129], -v[7:8]
	v_mul_f64_e32 v[7:8], v[47:48], v[130:131]
	v_fma_f64 v[15:16], v[49:50], v[128:129], v[7:8]
	v_mul_f64_e32 v[7:8], v[53:54], v[82:83]
	v_add_f64_e32 v[49:50], v[172:173], v[212:213]
	s_delay_alu instid0(VALU_DEP_2) | instskip(SKIP_2) | instid1(VALU_DEP_4)
	v_fma_f64 v[11:12], v[51:52], v[80:81], -v[7:8]
	v_mul_f64_e32 v[7:8], v[51:52], v[82:83]
	v_add_f64_e32 v[51:52], v[174:175], v[214:215]
	v_add_f64_e32 v[49:50], v[49:50], v[35:36]
	s_delay_alu instid0(VALU_DEP_3) | instskip(NEXT) | instid1(VALU_DEP_3)
	v_fma_f64 v[7:8], v[53:54], v[80:81], v[7:8]
	v_add_f64_e32 v[51:52], v[51:52], v[37:38]
	s_delay_alu instid0(VALU_DEP_3) | instskip(NEXT) | instid1(VALU_DEP_2)
	v_add_f64_e32 v[49:50], v[49:50], v[33:34]
	v_add_f64_e32 v[51:52], v[51:52], v[27:28]
	s_delay_alu instid0(VALU_DEP_2) | instskip(NEXT) | instid1(VALU_DEP_2)
	v_add_f64_e32 v[49:50], v[49:50], v[23:24]
	v_add_f64_e32 v[51:52], v[51:52], v[194:195]
	s_delay_alu instid0(VALU_DEP_2) | instskip(NEXT) | instid1(VALU_DEP_2)
	v_add_f64_e32 v[49:50], v[49:50], v[190:191]
	v_add_f64_e32 v[51:52], v[51:52], v[186:187]
	s_delay_alu instid0(VALU_DEP_2)
	v_add_f64_e32 v[49:50], v[49:50], v[182:183]
	v_mul_f64_e32 v[45:46], v[170:171], v[110:111]
	v_mul_f64_e32 v[41:42], v[210:211], v[154:155]
	;; [unrolled: 1-line block ×5, first 2 shown]
	v_add_f64_e32 v[51:52], v[51:52], v[178:179]
	v_add_f64_e32 v[49:50], v[49:50], v[21:22]
	v_fma_f64 v[45:46], v[168:169], v[108:109], -v[45:46]
	v_fma_f64 v[43:44], v[208:209], v[152:153], -v[41:42]
	;; [unrolled: 1-line block ×4, first 2 shown]
	v_mul_f64_e32 v[25:26], v[196:197], v[166:167]
	v_mul_f64_e32 v[31:32], v[200:201], v[162:163]
	;; [unrolled: 1-line block ×3, first 2 shown]
	v_fma_f64 v[47:48], v[170:171], v[108:109], v[47:48]
	v_add_f64_e32 v[51:52], v[51:52], v[15:16]
	v_add_f64_e32 v[49:50], v[49:50], v[11:12]
	v_fma_f64 v[25:26], v[198:199], v[164:165], v[25:26]
	v_fma_f64 v[31:32], v[202:203], v[160:161], v[31:32]
	;; [unrolled: 1-line block ×3, first 2 shown]
	v_add_f64_e32 v[51:52], v[51:52], v[7:8]
	v_add_f64_e32 v[49:50], v[49:50], v[13:14]
	s_delay_alu instid0(VALU_DEP_2) | instskip(NEXT) | instid1(VALU_DEP_2)
	v_add_f64_e32 v[51:52], v[51:52], v[9:10]
	v_add_f64_e32 v[49:50], v[49:50], v[176:177]
	s_delay_alu instid0(VALU_DEP_2) | instskip(NEXT) | instid1(VALU_DEP_2)
	;; [unrolled: 3-line block ×7, first 2 shown]
	v_add_f64_e32 v[51:52], v[51:52], v[41:42]
	v_add_f64_e32 v[168:169], v[49:50], v[45:46]
	;; [unrolled: 1-line block ×3, first 2 shown]
	v_add_f64_e64 v[45:46], v[212:213], -v[45:46]
	s_delay_alu instid0(VALU_DEP_4) | instskip(SKIP_2) | instid1(VALU_DEP_4)
	v_add_f64_e32 v[170:171], v[51:52], v[47:48]
	v_add_f64_e32 v[51:52], v[214:215], v[47:48]
	v_add_f64_e64 v[47:48], v[214:215], -v[47:48]
	v_mul_f64_e32 v[57:58], s[40:41], v[45:46]
	v_mul_f64_e32 v[65:66], s[46:47], v[45:46]
	;; [unrolled: 1-line block ×9, first 2 shown]
	v_fma_f64 v[59:60], v[51:52], s[24:25], v[57:58]
	v_fma_f64 v[57:58], v[51:52], s[24:25], -v[57:58]
	v_mul_f64_e32 v[61:62], s[46:47], v[47:48]
	v_fma_f64 v[196:197], v[51:52], s[18:19], v[65:66]
	v_fma_f64 v[65:66], v[51:52], s[18:19], -v[65:66]
	v_mul_f64_e32 v[198:199], s[48:49], v[47:48]
	v_fma_f64 v[208:209], v[51:52], s[14:15], v[202:203]
	v_fma_f64 v[202:203], v[51:52], s[14:15], -v[202:203]
	v_mul_f64_e32 v[210:211], s[42:43], v[47:48]
	s_wait_alu 0xf1fe
	v_fma_f64 v[216:217], v[51:52], s[0:1], v[214:215]
	v_fma_f64 v[214:215], v[51:52], s[0:1], -v[214:215]
	v_mul_f64_e32 v[218:219], s[16:17], v[47:48]
	v_fma_f64 v[224:225], v[51:52], s[12:13], v[222:223]
	v_fma_f64 v[222:223], v[51:52], s[12:13], -v[222:223]
	v_mul_f64_e32 v[226:227], s[22:23], v[47:48]
	;; [unrolled: 3-line block ×4, first 2 shown]
	v_fma_f64 v[245:246], v[51:52], s[36:37], v[45:46]
	v_fma_f64 v[45:46], v[51:52], s[36:37], -v[45:46]
	v_add_f64_e32 v[51:52], v[37:38], v[41:42]
	v_add_f64_e64 v[37:38], v[37:38], -v[41:42]
	v_fma_f64 v[55:56], v[49:50], s[24:25], -v[53:54]
	v_fma_f64 v[53:54], v[49:50], s[24:25], v[53:54]
	v_add_f64_e32 v[57:58], v[174:175], v[57:58]
	v_fma_f64 v[63:64], v[49:50], s[18:19], -v[61:62]
	v_fma_f64 v[61:62], v[49:50], s[18:19], v[61:62]
	v_add_f64_e32 v[59:60], v[174:175], v[59:60]
	;; [unrolled: 3-line block ×8, first 2 shown]
	v_add_f64_e64 v[35:36], v[35:36], -v[43:44]
	v_mul_f64_e32 v[41:42], s[46:47], v[37:38]
	v_add_f64_e32 v[214:215], v[174:175], v[214:215]
	v_add_f64_e32 v[224:225], v[174:175], v[224:225]
	;; [unrolled: 1-line block ×25, first 2 shown]
	v_mul_f64_e32 v[174:175], s[22:23], v[35:36]
	v_fma_f64 v[43:44], v[49:50], s[18:19], -v[41:42]
	v_fma_f64 v[41:42], v[49:50], s[18:19], v[41:42]
	s_delay_alu instid0(VALU_DEP_2) | instskip(SKIP_1) | instid1(VALU_DEP_3)
	v_add_f64_e32 v[43:44], v[43:44], v[55:56]
	v_mul_f64_e32 v[55:56], s[46:47], v[35:36]
	v_add_f64_e32 v[41:42], v[41:42], v[53:54]
	s_delay_alu instid0(VALU_DEP_2) | instskip(SKIP_2) | instid1(VALU_DEP_3)
	v_fma_f64 v[172:173], v[51:52], s[18:19], v[55:56]
	v_fma_f64 v[53:54], v[51:52], s[18:19], -v[55:56]
	v_mul_f64_e32 v[55:56], s[42:43], v[37:38]
	v_add_f64_e32 v[59:60], v[172:173], v[59:60]
	s_delay_alu instid0(VALU_DEP_3) | instskip(NEXT) | instid1(VALU_DEP_3)
	v_add_f64_e32 v[53:54], v[53:54], v[57:58]
	v_fma_f64 v[57:58], v[49:50], s[0:1], -v[55:56]
	v_fma_f64 v[55:56], v[49:50], s[0:1], v[55:56]
	s_delay_alu instid0(VALU_DEP_2) | instskip(SKIP_1) | instid1(VALU_DEP_3)
	v_add_f64_e32 v[57:58], v[57:58], v[63:64]
	v_mul_f64_e32 v[63:64], s[42:43], v[35:36]
	v_add_f64_e32 v[55:56], v[55:56], v[61:62]
	s_delay_alu instid0(VALU_DEP_2) | instskip(SKIP_2) | instid1(VALU_DEP_3)
	v_fma_f64 v[172:173], v[51:52], s[0:1], v[63:64]
	v_fma_f64 v[61:62], v[51:52], s[0:1], -v[63:64]
	v_mul_f64_e32 v[63:64], s[22:23], v[37:38]
	v_add_f64_e32 v[172:173], v[172:173], v[196:197]
	s_delay_alu instid0(VALU_DEP_3) | instskip(NEXT) | instid1(VALU_DEP_3)
	v_add_f64_e32 v[61:62], v[61:62], v[65:66]
	v_fma_f64 v[65:66], v[49:50], s[20:21], -v[63:64]
	v_fma_f64 v[63:64], v[49:50], s[20:21], v[63:64]
	v_fma_f64 v[196:197], v[51:52], s[20:21], v[174:175]
	v_fma_f64 v[174:175], v[51:52], s[20:21], -v[174:175]
	s_delay_alu instid0(VALU_DEP_4) | instskip(NEXT) | instid1(VALU_DEP_4)
	v_add_f64_e32 v[65:66], v[65:66], v[200:201]
	v_add_f64_e32 v[63:64], v[63:64], v[198:199]
	v_mul_f64_e32 v[198:199], s[34:35], v[37:38]
	s_delay_alu instid0(VALU_DEP_4) | instskip(SKIP_2) | instid1(VALU_DEP_4)
	v_add_f64_e32 v[174:175], v[174:175], v[202:203]
	v_mul_f64_e32 v[202:203], s[34:35], v[35:36]
	v_add_f64_e32 v[196:197], v[196:197], v[208:209]
	v_fma_f64 v[200:201], v[49:50], s[36:37], -v[198:199]
	v_fma_f64 v[198:199], v[49:50], s[36:37], v[198:199]
	s_delay_alu instid0(VALU_DEP_4) | instskip(SKIP_1) | instid1(VALU_DEP_4)
	v_fma_f64 v[208:209], v[51:52], s[36:37], v[202:203]
	v_fma_f64 v[202:203], v[51:52], s[36:37], -v[202:203]
	v_add_f64_e32 v[200:201], v[200:201], v[212:213]
	s_delay_alu instid0(VALU_DEP_4) | instskip(SKIP_1) | instid1(VALU_DEP_4)
	v_add_f64_e32 v[198:199], v[198:199], v[210:211]
	v_mul_f64_e32 v[210:211], s[52:53], v[37:38]
	v_add_f64_e32 v[202:203], v[202:203], v[214:215]
	v_mul_f64_e32 v[214:215], s[52:53], v[35:36]
	v_add_f64_e32 v[208:209], v[208:209], v[216:217]
	s_delay_alu instid0(VALU_DEP_4) | instskip(SKIP_1) | instid1(VALU_DEP_4)
	v_fma_f64 v[212:213], v[49:50], s[28:29], -v[210:211]
	v_fma_f64 v[210:211], v[49:50], s[28:29], v[210:211]
	v_fma_f64 v[216:217], v[51:52], s[28:29], v[214:215]
	v_fma_f64 v[214:215], v[51:52], s[28:29], -v[214:215]
	s_delay_alu instid0(VALU_DEP_4) | instskip(NEXT) | instid1(VALU_DEP_4)
	v_add_f64_e32 v[212:213], v[212:213], v[220:221]
	v_add_f64_e32 v[210:211], v[210:211], v[218:219]
	v_mul_f64_e32 v[218:219], s[50:51], v[37:38]
	s_delay_alu instid0(VALU_DEP_4) | instskip(SKIP_2) | instid1(VALU_DEP_4)
	v_add_f64_e32 v[214:215], v[214:215], v[222:223]
	v_mul_f64_e32 v[222:223], s[50:51], v[35:36]
	v_add_f64_e32 v[216:217], v[216:217], v[224:225]
	v_fma_f64 v[220:221], v[49:50], s[12:13], -v[218:219]
	v_fma_f64 v[218:219], v[49:50], s[12:13], v[218:219]
	s_delay_alu instid0(VALU_DEP_4) | instskip(SKIP_1) | instid1(VALU_DEP_4)
	v_fma_f64 v[224:225], v[51:52], s[12:13], v[222:223]
	v_fma_f64 v[222:223], v[51:52], s[12:13], -v[222:223]
	v_add_f64_e32 v[220:221], v[220:221], v[228:229]
	s_delay_alu instid0(VALU_DEP_4)
	v_add_f64_e32 v[218:219], v[218:219], v[226:227]
	v_mul_f64_e32 v[226:227], s[26:27], v[37:38]
	v_mul_f64_e32 v[37:38], s[38:39], v[37:38]
	v_add_f64_e32 v[222:223], v[222:223], v[230:231]
	v_mul_f64_e32 v[230:231], s[26:27], v[35:36]
	v_mul_f64_e32 v[35:36], s[38:39], v[35:36]
	v_add_f64_e32 v[224:225], v[224:225], v[232:233]
	v_fma_f64 v[228:229], v[49:50], s[14:15], -v[226:227]
	v_fma_f64 v[226:227], v[49:50], s[14:15], v[226:227]
	v_fma_f64 v[232:233], v[51:52], s[14:15], v[230:231]
	v_fma_f64 v[230:231], v[51:52], s[14:15], -v[230:231]
	s_delay_alu instid0(VALU_DEP_4) | instskip(NEXT) | instid1(VALU_DEP_4)
	v_add_f64_e32 v[228:229], v[228:229], v[236:237]
	v_add_f64_e32 v[226:227], v[226:227], v[234:235]
	v_fma_f64 v[234:235], v[49:50], s[24:25], -v[37:38]
	v_fma_f64 v[37:38], v[49:50], s[24:25], v[37:38]
	v_fma_f64 v[236:237], v[51:52], s[24:25], v[35:36]
	v_fma_f64 v[35:36], v[51:52], s[24:25], -v[35:36]
	v_add_f64_e32 v[230:231], v[230:231], v[238:239]
	v_add_f64_e32 v[232:233], v[232:233], v[240:241]
	;; [unrolled: 1-line block ×5, first 2 shown]
	v_add_f64_e64 v[27:28], v[27:28], -v[31:32]
	v_add_f64_e32 v[35:36], v[35:36], v[45:46]
	v_add_f64_e32 v[45:46], v[33:34], v[39:40]
	v_add_f64_e64 v[33:34], v[33:34], -v[39:40]
	v_add_f64_e32 v[236:237], v[236:237], v[245:246]
	v_mul_f64_e32 v[31:32], s[48:49], v[27:28]
	s_delay_alu instid0(VALU_DEP_1) | instskip(SKIP_1) | instid1(VALU_DEP_2)
	v_fma_f64 v[39:40], v[45:46], s[14:15], -v[31:32]
	v_fma_f64 v[31:32], v[45:46], s[14:15], v[31:32]
	v_add_f64_e32 v[39:40], v[39:40], v[43:44]
	v_mul_f64_e32 v[43:44], s[48:49], v[33:34]
	s_delay_alu instid0(VALU_DEP_3) | instskip(NEXT) | instid1(VALU_DEP_2)
	v_add_f64_e32 v[31:32], v[31:32], v[41:42]
	v_fma_f64 v[49:50], v[47:48], s[14:15], v[43:44]
	v_fma_f64 v[41:42], v[47:48], s[14:15], -v[43:44]
	v_mul_f64_e32 v[43:44], s[22:23], v[27:28]
	s_delay_alu instid0(VALU_DEP_3) | instskip(NEXT) | instid1(VALU_DEP_3)
	v_add_f64_e32 v[49:50], v[49:50], v[59:60]
	v_add_f64_e32 v[41:42], v[41:42], v[53:54]
	s_delay_alu instid0(VALU_DEP_3) | instskip(SKIP_2) | instid1(VALU_DEP_3)
	v_fma_f64 v[51:52], v[45:46], s[20:21], -v[43:44]
	v_fma_f64 v[43:44], v[45:46], s[20:21], v[43:44]
	v_mul_f64_e32 v[53:54], s[22:23], v[33:34]
	v_add_f64_e32 v[51:52], v[51:52], v[57:58]
	s_delay_alu instid0(VALU_DEP_3) | instskip(SKIP_1) | instid1(VALU_DEP_4)
	v_add_f64_e32 v[43:44], v[43:44], v[55:56]
	v_mul_f64_e32 v[55:56], s[44:45], v[27:28]
	v_fma_f64 v[57:58], v[47:48], s[20:21], v[53:54]
	v_fma_f64 v[53:54], v[47:48], s[20:21], -v[53:54]
	s_delay_alu instid0(VALU_DEP_3) | instskip(SKIP_1) | instid1(VALU_DEP_3)
	v_fma_f64 v[59:60], v[45:46], s[36:37], -v[55:56]
	v_fma_f64 v[55:56], v[45:46], s[36:37], v[55:56]
	v_add_f64_e32 v[53:54], v[53:54], v[61:62]
	v_mul_f64_e32 v[61:62], s[44:45], v[33:34]
	v_add_f64_e32 v[57:58], v[57:58], v[172:173]
	s_mov_b32 s45, 0x3fe58eea
	s_mov_b32 s44, s46
	v_add_f64_e32 v[59:60], v[59:60], v[65:66]
	v_add_f64_e32 v[55:56], v[55:56], v[63:64]
	v_mul_f64_e32 v[63:64], s[50:51], v[27:28]
	v_fma_f64 v[65:66], v[47:48], s[36:37], v[61:62]
	v_fma_f64 v[61:62], v[47:48], s[36:37], -v[61:62]
	s_delay_alu instid0(VALU_DEP_3) | instskip(SKIP_1) | instid1(VALU_DEP_3)
	v_fma_f64 v[172:173], v[45:46], s[12:13], -v[63:64]
	v_fma_f64 v[63:64], v[45:46], s[12:13], v[63:64]
	v_add_f64_e32 v[61:62], v[61:62], v[174:175]
	v_mul_f64_e32 v[174:175], s[50:51], v[33:34]
	v_add_f64_e32 v[65:66], v[65:66], v[196:197]
	v_add_f64_e32 v[172:173], v[172:173], v[200:201]
	;; [unrolled: 1-line block ×3, first 2 shown]
	s_wait_alu 0xfffe
	v_mul_f64_e32 v[198:199], s[44:45], v[27:28]
	v_fma_f64 v[196:197], v[47:48], s[12:13], v[174:175]
	v_fma_f64 v[174:175], v[47:48], s[12:13], -v[174:175]
	s_delay_alu instid0(VALU_DEP_3) | instskip(SKIP_1) | instid1(VALU_DEP_3)
	v_fma_f64 v[200:201], v[45:46], s[18:19], -v[198:199]
	v_fma_f64 v[198:199], v[45:46], s[18:19], v[198:199]
	v_add_f64_e32 v[174:175], v[174:175], v[202:203]
	v_mul_f64_e32 v[202:203], s[44:45], v[33:34]
	v_add_f64_e32 v[196:197], v[196:197], v[208:209]
	v_add_f64_e32 v[200:201], v[200:201], v[212:213]
	;; [unrolled: 1-line block ×3, first 2 shown]
	v_mul_f64_e32 v[210:211], s[40:41], v[27:28]
	v_fma_f64 v[208:209], v[47:48], s[18:19], v[202:203]
	v_fma_f64 v[202:203], v[47:48], s[18:19], -v[202:203]
	s_delay_alu instid0(VALU_DEP_3) | instskip(SKIP_1) | instid1(VALU_DEP_3)
	v_fma_f64 v[212:213], v[45:46], s[24:25], -v[210:211]
	v_fma_f64 v[210:211], v[45:46], s[24:25], v[210:211]
	v_add_f64_e32 v[202:203], v[202:203], v[214:215]
	v_mul_f64_e32 v[214:215], s[40:41], v[33:34]
	v_add_f64_e32 v[208:209], v[208:209], v[216:217]
	v_add_f64_e32 v[212:213], v[212:213], v[220:221]
	v_add_f64_e32 v[210:211], v[210:211], v[218:219]
	v_mul_f64_e32 v[218:219], s[42:43], v[27:28]
	v_fma_f64 v[216:217], v[47:48], s[24:25], v[214:215]
	v_fma_f64 v[214:215], v[47:48], s[24:25], -v[214:215]
	v_mul_f64_e32 v[27:28], s[30:31], v[27:28]
	s_delay_alu instid0(VALU_DEP_4) | instskip(SKIP_1) | instid1(VALU_DEP_4)
	v_fma_f64 v[220:221], v[45:46], s[0:1], -v[218:219]
	v_fma_f64 v[218:219], v[45:46], s[0:1], v[218:219]
	v_add_f64_e32 v[214:215], v[214:215], v[222:223]
	v_mul_f64_e32 v[222:223], s[42:43], v[33:34]
	v_mul_f64_e32 v[33:34], s[30:31], v[33:34]
	v_add_f64_e32 v[216:217], v[216:217], v[224:225]
	v_add_f64_e32 v[220:221], v[220:221], v[228:229]
	;; [unrolled: 1-line block ×3, first 2 shown]
	v_fma_f64 v[226:227], v[45:46], s[28:29], -v[27:28]
	v_fma_f64 v[27:28], v[45:46], s[28:29], v[27:28]
	v_fma_f64 v[228:229], v[47:48], s[28:29], v[33:34]
	v_fma_f64 v[33:34], v[47:48], s[28:29], -v[33:34]
	v_fma_f64 v[224:225], v[47:48], s[0:1], v[222:223]
	v_fma_f64 v[222:223], v[47:48], s[0:1], -v[222:223]
	v_add_f64_e32 v[226:227], v[226:227], v[234:235]
	v_add_f64_e32 v[27:28], v[27:28], v[37:38]
	;; [unrolled: 1-line block ×3, first 2 shown]
	v_add_f64_e64 v[25:26], v[194:195], -v[25:26]
	v_add_f64_e32 v[33:34], v[33:34], v[35:36]
	v_add_f64_e32 v[35:36], v[23:24], v[29:30]
	v_add_f64_e64 v[23:24], v[23:24], -v[29:30]
	v_add_f64_e32 v[222:223], v[222:223], v[230:231]
	v_add_f64_e32 v[224:225], v[224:225], v[232:233]
	;; [unrolled: 1-line block ×3, first 2 shown]
	v_mul_f64_e32 v[29:30], s[42:43], v[25:26]
	v_mul_f64_e32 v[194:195], s[48:49], v[23:24]
	s_delay_alu instid0(VALU_DEP_2) | instskip(SKIP_1) | instid1(VALU_DEP_2)
	v_fma_f64 v[45:46], v[35:36], s[0:1], -v[29:30]
	v_fma_f64 v[29:30], v[35:36], s[0:1], v[29:30]
	v_add_f64_e32 v[39:40], v[45:46], v[39:40]
	v_mul_f64_e32 v[45:46], s[42:43], v[23:24]
	s_delay_alu instid0(VALU_DEP_3) | instskip(NEXT) | instid1(VALU_DEP_2)
	v_add_f64_e32 v[29:30], v[29:30], v[31:32]
	v_fma_f64 v[31:32], v[37:38], s[0:1], -v[45:46]
	v_fma_f64 v[47:48], v[37:38], s[0:1], v[45:46]
	s_delay_alu instid0(VALU_DEP_2) | instskip(SKIP_1) | instid1(VALU_DEP_3)
	v_add_f64_e32 v[31:32], v[31:32], v[41:42]
	v_mul_f64_e32 v[41:42], s[34:35], v[25:26]
	v_add_f64_e32 v[47:48], v[47:48], v[49:50]
	v_mul_f64_e32 v[49:50], s[34:35], v[23:24]
	s_delay_alu instid0(VALU_DEP_3) | instskip(SKIP_1) | instid1(VALU_DEP_2)
	v_fma_f64 v[45:46], v[35:36], s[36:37], -v[41:42]
	v_fma_f64 v[41:42], v[35:36], s[36:37], v[41:42]
	v_add_f64_e32 v[45:46], v[45:46], v[51:52]
	s_delay_alu instid0(VALU_DEP_4) | instskip(NEXT) | instid1(VALU_DEP_3)
	v_fma_f64 v[51:52], v[37:38], s[36:37], v[49:50]
	v_add_f64_e32 v[41:42], v[41:42], v[43:44]
	v_fma_f64 v[43:44], v[37:38], s[36:37], -v[49:50]
	v_mul_f64_e32 v[49:50], s[50:51], v[25:26]
	s_delay_alu instid0(VALU_DEP_4) | instskip(SKIP_1) | instid1(VALU_DEP_4)
	v_add_f64_e32 v[51:52], v[51:52], v[57:58]
	v_mul_f64_e32 v[57:58], s[50:51], v[23:24]
	v_add_f64_e32 v[43:44], v[43:44], v[53:54]
	s_delay_alu instid0(VALU_DEP_4) | instskip(SKIP_1) | instid1(VALU_DEP_2)
	v_fma_f64 v[53:54], v[35:36], s[12:13], -v[49:50]
	v_fma_f64 v[49:50], v[35:36], s[12:13], v[49:50]
	v_add_f64_e32 v[53:54], v[53:54], v[59:60]
	v_fma_f64 v[59:60], v[37:38], s[12:13], v[57:58]
	s_delay_alu instid0(VALU_DEP_3) | instskip(SKIP_2) | instid1(VALU_DEP_4)
	v_add_f64_e32 v[49:50], v[49:50], v[55:56]
	v_fma_f64 v[55:56], v[37:38], s[12:13], -v[57:58]
	v_mul_f64_e32 v[57:58], s[38:39], v[25:26]
	v_add_f64_e32 v[59:60], v[59:60], v[65:66]
	v_mul_f64_e32 v[65:66], s[38:39], v[23:24]
	s_delay_alu instid0(VALU_DEP_4) | instskip(NEXT) | instid1(VALU_DEP_4)
	v_add_f64_e32 v[55:56], v[55:56], v[61:62]
	v_fma_f64 v[61:62], v[35:36], s[24:25], -v[57:58]
	v_fma_f64 v[57:58], v[35:36], s[24:25], v[57:58]
	s_delay_alu instid0(VALU_DEP_2) | instskip(SKIP_1) | instid1(VALU_DEP_3)
	v_add_f64_e32 v[61:62], v[61:62], v[172:173]
	v_fma_f64 v[172:173], v[37:38], s[24:25], v[65:66]
	v_add_f64_e32 v[57:58], v[57:58], v[63:64]
	v_fma_f64 v[63:64], v[37:38], s[24:25], -v[65:66]
	v_mul_f64_e32 v[65:66], s[48:49], v[25:26]
	s_delay_alu instid0(VALU_DEP_4) | instskip(SKIP_1) | instid1(VALU_DEP_4)
	v_add_f64_e32 v[172:173], v[172:173], v[196:197]
	v_fma_f64 v[196:197], v[37:38], s[14:15], v[194:195]
	v_add_f64_e32 v[63:64], v[63:64], v[174:175]
	s_delay_alu instid0(VALU_DEP_4) | instskip(SKIP_3) | instid1(VALU_DEP_4)
	v_fma_f64 v[174:175], v[35:36], s[14:15], -v[65:66]
	v_fma_f64 v[65:66], v[35:36], s[14:15], v[65:66]
	v_fma_f64 v[194:195], v[37:38], s[14:15], -v[194:195]
	v_add_f64_e32 v[196:197], v[196:197], v[208:209]
	v_add_f64_e32 v[174:175], v[174:175], v[200:201]
	s_delay_alu instid0(VALU_DEP_4) | instskip(SKIP_3) | instid1(VALU_DEP_3)
	v_add_f64_e32 v[65:66], v[65:66], v[198:199]
	v_mul_f64_e32 v[198:199], s[30:31], v[25:26]
	v_add_f64_e32 v[194:195], v[194:195], v[202:203]
	v_mul_f64_e32 v[202:203], s[30:31], v[23:24]
	v_fma_f64 v[200:201], v[35:36], s[28:29], -v[198:199]
	v_fma_f64 v[198:199], v[35:36], s[28:29], v[198:199]
	s_delay_alu instid0(VALU_DEP_3) | instskip(SKIP_1) | instid1(VALU_DEP_4)
	v_fma_f64 v[208:209], v[37:38], s[28:29], v[202:203]
	v_fma_f64 v[202:203], v[37:38], s[28:29], -v[202:203]
	v_add_f64_e32 v[200:201], v[200:201], v[212:213]
	s_delay_alu instid0(VALU_DEP_4) | instskip(SKIP_1) | instid1(VALU_DEP_4)
	v_add_f64_e32 v[198:199], v[198:199], v[210:211]
	v_mul_f64_e32 v[210:211], s[54:55], v[25:26]
	v_add_f64_e32 v[202:203], v[202:203], v[214:215]
	v_mul_f64_e32 v[214:215], s[54:55], v[23:24]
	v_mul_f64_e32 v[25:26], s[44:45], v[25:26]
	;; [unrolled: 1-line block ×3, first 2 shown]
	v_add_f64_e32 v[208:209], v[208:209], v[216:217]
	v_fma_f64 v[212:213], v[35:36], s[20:21], -v[210:211]
	v_fma_f64 v[210:211], v[35:36], s[20:21], v[210:211]
	v_fma_f64 v[216:217], v[37:38], s[20:21], v[214:215]
	v_fma_f64 v[214:215], v[37:38], s[20:21], -v[214:215]
	s_delay_alu instid0(VALU_DEP_4) | instskip(NEXT) | instid1(VALU_DEP_4)
	v_add_f64_e32 v[212:213], v[212:213], v[220:221]
	v_add_f64_e32 v[210:211], v[210:211], v[218:219]
	v_fma_f64 v[218:219], v[35:36], s[18:19], -v[25:26]
	v_fma_f64 v[220:221], v[37:38], s[18:19], v[23:24]
	v_fma_f64 v[25:26], v[35:36], s[18:19], v[25:26]
	v_fma_f64 v[23:24], v[37:38], s[18:19], -v[23:24]
	v_add_f64_e64 v[37:38], v[186:187], -v[188:189]
	v_add_f64_e64 v[35:36], v[190:191], -v[192:193]
	v_add_f64_e32 v[214:215], v[214:215], v[222:223]
	v_add_f64_e32 v[216:217], v[216:217], v[224:225]
	;; [unrolled: 1-line block ×3, first 2 shown]
	v_add_f64_e64 v[21:22], v[21:22], -v[176:177]
	v_add_f64_e32 v[218:219], v[218:219], v[226:227]
	v_add_f64_e32 v[220:221], v[220:221], v[228:229]
	;; [unrolled: 1-line block ×6, first 2 shown]
	v_mul_f64_e32 v[186:187], s[16:17], v[37:38]
	v_add_f64_e32 v[226:227], v[15:16], v[17:18]
	v_add_f64_e64 v[15:16], v[15:16], -v[17:18]
	s_delay_alu instid0(VALU_DEP_3) | instskip(SKIP_1) | instid1(VALU_DEP_3)
	v_fma_f64 v[188:189], v[27:28], s[12:13], -v[186:187]
	v_fma_f64 v[186:187], v[27:28], s[12:13], v[186:187]
	v_mul_f64_e32 v[17:18], s[30:31], v[15:16]
	s_delay_alu instid0(VALU_DEP_3) | instskip(SKIP_1) | instid1(VALU_DEP_4)
	v_add_f64_e32 v[39:40], v[188:189], v[39:40]
	v_mul_f64_e32 v[188:189], s[16:17], v[35:36]
	v_add_f64_e32 v[29:30], v[186:187], v[29:30]
	s_delay_alu instid0(VALU_DEP_2) | instskip(SKIP_1) | instid1(VALU_DEP_2)
	v_fma_f64 v[186:187], v[33:34], s[12:13], -v[188:189]
	v_fma_f64 v[190:191], v[33:34], s[12:13], v[188:189]
	v_add_f64_e32 v[31:32], v[186:187], v[31:32]
	v_mul_f64_e32 v[186:187], s[52:53], v[37:38]
	s_delay_alu instid0(VALU_DEP_3) | instskip(NEXT) | instid1(VALU_DEP_2)
	v_add_f64_e32 v[47:48], v[190:191], v[47:48]
	v_fma_f64 v[188:189], v[27:28], s[28:29], -v[186:187]
	v_fma_f64 v[186:187], v[27:28], s[28:29], v[186:187]
	s_delay_alu instid0(VALU_DEP_2) | instskip(SKIP_1) | instid1(VALU_DEP_3)
	v_add_f64_e32 v[45:46], v[188:189], v[45:46]
	v_mul_f64_e32 v[188:189], s[52:53], v[35:36]
	v_add_f64_e32 v[41:42], v[186:187], v[41:42]
	s_delay_alu instid0(VALU_DEP_2) | instskip(SKIP_1) | instid1(VALU_DEP_2)
	v_fma_f64 v[186:187], v[33:34], s[28:29], -v[188:189]
	v_fma_f64 v[190:191], v[33:34], s[28:29], v[188:189]
	v_add_f64_e32 v[43:44], v[186:187], v[43:44]
	v_mul_f64_e32 v[186:187], s[44:45], v[37:38]
	s_delay_alu instid0(VALU_DEP_3) | instskip(NEXT) | instid1(VALU_DEP_2)
	v_add_f64_e32 v[51:52], v[190:191], v[51:52]
	v_fma_f64 v[188:189], v[27:28], s[18:19], -v[186:187]
	v_fma_f64 v[186:187], v[27:28], s[18:19], v[186:187]
	s_delay_alu instid0(VALU_DEP_2) | instskip(SKIP_1) | instid1(VALU_DEP_3)
	;; [unrolled: 13-line block ×3, first 2 shown]
	v_add_f64_e32 v[61:62], v[188:189], v[61:62]
	v_mul_f64_e32 v[188:189], s[48:49], v[35:36]
	v_add_f64_e32 v[57:58], v[186:187], v[57:58]
	s_mov_b32 s49, 0x3fefdd0d
	s_mov_b32 s48, s42
	s_delay_alu instid0(VALU_DEP_2) | instskip(SKIP_1) | instid1(VALU_DEP_2)
	v_fma_f64 v[186:187], v[33:34], s[14:15], -v[188:189]
	v_fma_f64 v[190:191], v[33:34], s[14:15], v[188:189]
	v_add_f64_e32 v[63:64], v[186:187], v[63:64]
	v_mul_f64_e32 v[186:187], s[34:35], v[37:38]
	s_delay_alu instid0(VALU_DEP_3) | instskip(NEXT) | instid1(VALU_DEP_2)
	v_add_f64_e32 v[172:173], v[190:191], v[172:173]
	v_fma_f64 v[188:189], v[27:28], s[36:37], -v[186:187]
	v_fma_f64 v[186:187], v[27:28], s[36:37], v[186:187]
	s_delay_alu instid0(VALU_DEP_2) | instskip(SKIP_1) | instid1(VALU_DEP_3)
	v_add_f64_e32 v[174:175], v[188:189], v[174:175]
	v_mul_f64_e32 v[188:189], s[34:35], v[35:36]
	v_add_f64_e32 v[65:66], v[186:187], v[65:66]
	s_delay_alu instid0(VALU_DEP_2) | instskip(SKIP_3) | instid1(VALU_DEP_3)
	v_fma_f64 v[190:191], v[33:34], s[36:37], v[188:189]
	v_fma_f64 v[186:187], v[33:34], s[36:37], -v[188:189]
	s_wait_alu 0xfffe
	v_mul_f64_e32 v[188:189], s[48:49], v[37:38]
	v_add_f64_e32 v[190:191], v[190:191], v[196:197]
	s_delay_alu instid0(VALU_DEP_3) | instskip(NEXT) | instid1(VALU_DEP_3)
	v_add_f64_e32 v[186:187], v[186:187], v[194:195]
	v_fma_f64 v[192:193], v[27:28], s[0:1], -v[188:189]
	v_fma_f64 v[188:189], v[27:28], s[0:1], v[188:189]
	v_mul_f64_e32 v[194:195], s[48:49], v[35:36]
	s_delay_alu instid0(VALU_DEP_3) | instskip(NEXT) | instid1(VALU_DEP_3)
	v_add_f64_e32 v[192:193], v[192:193], v[200:201]
	v_add_f64_e32 v[188:189], v[188:189], v[198:199]
	v_mul_f64_e32 v[198:199], s[40:41], v[37:38]
	s_delay_alu instid0(VALU_DEP_4) | instskip(SKIP_2) | instid1(VALU_DEP_4)
	v_fma_f64 v[196:197], v[33:34], s[0:1], v[194:195]
	v_fma_f64 v[194:195], v[33:34], s[0:1], -v[194:195]
	v_mul_f64_e32 v[37:38], s[22:23], v[37:38]
	v_fma_f64 v[200:201], v[27:28], s[24:25], -v[198:199]
	v_fma_f64 v[198:199], v[27:28], s[24:25], v[198:199]
	s_delay_alu instid0(VALU_DEP_4)
	v_add_f64_e32 v[194:195], v[194:195], v[202:203]
	v_mul_f64_e32 v[202:203], s[40:41], v[35:36]
	v_mul_f64_e32 v[35:36], s[22:23], v[35:36]
	v_add_f64_e32 v[196:197], v[196:197], v[208:209]
	v_add_f64_e32 v[200:201], v[200:201], v[212:213]
	;; [unrolled: 1-line block ×3, first 2 shown]
	v_fma_f64 v[210:211], v[27:28], s[20:21], -v[37:38]
	v_fma_f64 v[27:28], v[27:28], s[20:21], v[37:38]
	v_add_f64_e64 v[37:38], v[178:179], -v[180:181]
	v_fma_f64 v[208:209], v[33:34], s[24:25], v[202:203]
	v_fma_f64 v[202:203], v[33:34], s[24:25], -v[202:203]
	v_fma_f64 v[212:213], v[33:34], s[20:21], v[35:36]
	v_add_f64_e32 v[210:211], v[210:211], v[218:219]
	v_add_f64_e32 v[25:26], v[27:28], v[25:26]
	v_fma_f64 v[27:28], v[33:34], s[20:21], -v[35:36]
	v_add_f64_e32 v[33:34], v[178:179], v[180:181]
	v_mul_f64_e32 v[178:179], s[22:23], v[37:38]
	v_add_f64_e64 v[35:36], v[182:183], -v[184:185]
	v_add_f64_e32 v[202:203], v[202:203], v[214:215]
	v_add_f64_e32 v[208:209], v[208:209], v[216:217]
	;; [unrolled: 1-line block ×5, first 2 shown]
	s_delay_alu instid0(VALU_DEP_1) | instskip(SKIP_1) | instid1(VALU_DEP_2)
	v_fma_f64 v[180:181], v[27:28], s[20:21], -v[178:179]
	v_fma_f64 v[178:179], v[27:28], s[20:21], v[178:179]
	v_add_f64_e32 v[39:40], v[180:181], v[39:40]
	v_mul_f64_e32 v[180:181], s[22:23], v[35:36]
	s_delay_alu instid0(VALU_DEP_3) | instskip(NEXT) | instid1(VALU_DEP_2)
	v_add_f64_e32 v[29:30], v[178:179], v[29:30]
	v_fma_f64 v[178:179], v[33:34], s[20:21], -v[180:181]
	v_fma_f64 v[182:183], v[33:34], s[20:21], v[180:181]
	s_delay_alu instid0(VALU_DEP_2) | instskip(SKIP_1) | instid1(VALU_DEP_3)
	v_add_f64_e32 v[31:32], v[178:179], v[31:32]
	v_mul_f64_e32 v[178:179], s[50:51], v[37:38]
	v_add_f64_e32 v[47:48], v[182:183], v[47:48]
	s_delay_alu instid0(VALU_DEP_2) | instskip(SKIP_1) | instid1(VALU_DEP_2)
	v_fma_f64 v[180:181], v[27:28], s[12:13], -v[178:179]
	v_fma_f64 v[178:179], v[27:28], s[12:13], v[178:179]
	v_add_f64_e32 v[45:46], v[180:181], v[45:46]
	v_mul_f64_e32 v[180:181], s[50:51], v[35:36]
	s_delay_alu instid0(VALU_DEP_3) | instskip(NEXT) | instid1(VALU_DEP_2)
	v_add_f64_e32 v[41:42], v[178:179], v[41:42]
	v_fma_f64 v[178:179], v[33:34], s[12:13], -v[180:181]
	v_fma_f64 v[182:183], v[33:34], s[12:13], v[180:181]
	s_delay_alu instid0(VALU_DEP_2) | instskip(SKIP_1) | instid1(VALU_DEP_3)
	v_add_f64_e32 v[43:44], v[178:179], v[43:44]
	v_mul_f64_e32 v[178:179], s[40:41], v[37:38]
	v_add_f64_e32 v[51:52], v[182:183], v[51:52]
	s_delay_alu instid0(VALU_DEP_2) | instskip(SKIP_1) | instid1(VALU_DEP_2)
	;; [unrolled: 13-line block ×5, first 2 shown]
	v_fma_f64 v[61:62], v[27:28], s[18:19], -v[57:58]
	v_fma_f64 v[57:58], v[27:28], s[18:19], v[57:58]
	v_add_f64_e32 v[192:193], v[61:62], v[192:193]
	v_mul_f64_e32 v[61:62], s[46:47], v[35:36]
	s_delay_alu instid0(VALU_DEP_3) | instskip(NEXT) | instid1(VALU_DEP_2)
	v_add_f64_e32 v[188:189], v[57:58], v[188:189]
	v_fma_f64 v[57:58], v[33:34], s[18:19], -v[61:62]
	v_fma_f64 v[63:64], v[33:34], s[18:19], v[61:62]
	s_delay_alu instid0(VALU_DEP_2) | instskip(SKIP_2) | instid1(VALU_DEP_4)
	v_add_f64_e32 v[194:195], v[57:58], v[194:195]
	v_mul_f64_e32 v[57:58], s[34:35], v[37:38]
	v_mul_f64_e32 v[37:38], s[26:27], v[37:38]
	v_add_f64_e32 v[196:197], v[63:64], v[196:197]
	s_delay_alu instid0(VALU_DEP_3) | instskip(SKIP_1) | instid1(VALU_DEP_2)
	v_fma_f64 v[61:62], v[27:28], s[36:37], -v[57:58]
	v_fma_f64 v[57:58], v[27:28], s[36:37], v[57:58]
	v_add_f64_e32 v[200:201], v[61:62], v[200:201]
	v_mul_f64_e32 v[61:62], s[34:35], v[35:36]
	s_delay_alu instid0(VALU_DEP_3) | instskip(SKIP_1) | instid1(VALU_DEP_3)
	v_add_f64_e32 v[198:199], v[57:58], v[198:199]
	v_mul_f64_e32 v[35:36], s[26:27], v[35:36]
	v_fma_f64 v[57:58], v[33:34], s[36:37], -v[61:62]
	v_fma_f64 v[63:64], v[33:34], s[36:37], v[61:62]
	s_delay_alu instid0(VALU_DEP_2) | instskip(SKIP_2) | instid1(VALU_DEP_4)
	v_add_f64_e32 v[202:203], v[57:58], v[202:203]
	v_fma_f64 v[57:58], v[27:28], s[14:15], -v[37:38]
	v_fma_f64 v[27:28], v[27:28], s[14:15], v[37:38]
	v_add_f64_e32 v[208:209], v[63:64], v[208:209]
	s_delay_alu instid0(VALU_DEP_3) | instskip(NEXT) | instid1(VALU_DEP_3)
	v_add_f64_e32 v[210:211], v[57:58], v[210:211]
	v_add_f64_e32 v[222:223], v[27:28], v[25:26]
	v_fma_f64 v[25:26], v[33:34], s[14:15], -v[35:36]
	v_fma_f64 v[57:58], v[33:34], s[14:15], v[35:36]
	s_delay_alu instid0(VALU_DEP_2) | instskip(SKIP_2) | instid1(VALU_DEP_4)
	v_add_f64_e32 v[23:24], v[25:26], v[23:24]
	v_fma_f64 v[25:26], v[224:225], s[28:29], -v[17:18]
	v_fma_f64 v[17:18], v[224:225], s[28:29], v[17:18]
	v_add_f64_e32 v[212:213], v[57:58], v[212:213]
	s_delay_alu instid0(VALU_DEP_3) | instskip(SKIP_1) | instid1(VALU_DEP_4)
	v_add_f64_e32 v[228:229], v[25:26], v[39:40]
	v_mul_f64_e32 v[25:26], s[30:31], v[21:22]
	v_add_f64_e32 v[232:233], v[17:18], v[29:30]
	s_delay_alu instid0(VALU_DEP_2) | instskip(SKIP_1) | instid1(VALU_DEP_2)
	v_fma_f64 v[17:18], v[226:227], s[28:29], -v[25:26]
	v_fma_f64 v[27:28], v[226:227], s[28:29], v[25:26]
	v_add_f64_e32 v[234:235], v[17:18], v[31:32]
	v_mul_f64_e32 v[17:18], s[26:27], v[15:16]
	s_delay_alu instid0(VALU_DEP_3) | instskip(NEXT) | instid1(VALU_DEP_2)
	v_add_f64_e32 v[230:231], v[27:28], v[47:48]
	v_fma_f64 v[25:26], v[224:225], s[14:15], -v[17:18]
	v_fma_f64 v[17:18], v[224:225], s[14:15], v[17:18]
	s_delay_alu instid0(VALU_DEP_2) | instskip(SKIP_1) | instid1(VALU_DEP_3)
	v_add_f64_e32 v[180:181], v[25:26], v[45:46]
	v_mul_f64_e32 v[25:26], s[26:27], v[21:22]
	v_add_f64_e32 v[176:177], v[17:18], v[41:42]
	s_delay_alu instid0(VALU_DEP_2) | instskip(SKIP_1) | instid1(VALU_DEP_2)
	v_fma_f64 v[17:18], v[226:227], s[14:15], -v[25:26]
	v_fma_f64 v[27:28], v[226:227], s[14:15], v[25:26]
	v_add_f64_e32 v[178:179], v[17:18], v[43:44]
	v_mul_f64_e32 v[17:18], s[42:43], v[15:16]
	s_delay_alu instid0(VALU_DEP_3) | instskip(NEXT) | instid1(VALU_DEP_2)
	v_add_f64_e32 v[182:183], v[27:28], v[51:52]
	v_fma_f64 v[25:26], v[224:225], s[0:1], -v[17:18]
	v_fma_f64 v[17:18], v[224:225], s[0:1], v[17:18]
	s_delay_alu instid0(VALU_DEP_2) | instskip(SKIP_1) | instid1(VALU_DEP_3)
	;; [unrolled: 13-line block ×5, first 2 shown]
	v_add_f64_e32 v[41:42], v[25:26], v[192:193]
	v_mul_f64_e32 v[25:26], s[34:35], v[21:22]
	v_add_f64_e32 v[39:40], v[17:18], v[188:189]
	s_delay_alu instid0(VALU_DEP_2) | instskip(SKIP_1) | instid1(VALU_DEP_2)
	v_fma_f64 v[17:18], v[226:227], s[36:37], -v[25:26]
	v_fma_f64 v[27:28], v[226:227], s[36:37], v[25:26]
	v_add_f64_e32 v[37:38], v[17:18], v[194:195]
	v_mul_f64_e32 v[17:18], s[44:45], v[15:16]
	v_mul_f64_e32 v[15:16], s[16:17], v[15:16]
	s_delay_alu instid0(VALU_DEP_4) | instskip(NEXT) | instid1(VALU_DEP_3)
	v_add_f64_e32 v[43:44], v[27:28], v[196:197]
	v_fma_f64 v[25:26], v[224:225], s[18:19], -v[17:18]
	v_fma_f64 v[17:18], v[224:225], s[18:19], v[17:18]
	s_delay_alu instid0(VALU_DEP_2) | instskip(SKIP_1) | instid1(VALU_DEP_3)
	v_add_f64_e32 v[33:34], v[25:26], v[200:201]
	v_mul_f64_e32 v[25:26], s[44:45], v[21:22]
	v_add_f64_e32 v[31:32], v[17:18], v[198:199]
	s_delay_alu instid0(VALU_DEP_2) | instskip(SKIP_1) | instid1(VALU_DEP_2)
	v_fma_f64 v[17:18], v[226:227], s[18:19], -v[25:26]
	v_fma_f64 v[27:28], v[226:227], s[18:19], v[25:26]
	v_add_f64_e32 v[29:30], v[17:18], v[202:203]
	v_fma_f64 v[17:18], v[224:225], s[12:13], -v[15:16]
	s_delay_alu instid0(VALU_DEP_3) | instskip(SKIP_1) | instid1(VALU_DEP_3)
	v_add_f64_e32 v[35:36], v[27:28], v[208:209]
	v_fma_f64 v[15:16], v[224:225], s[12:13], v[15:16]
	v_add_f64_e32 v[27:28], v[17:18], v[210:211]
	v_mul_f64_e32 v[17:18], s[16:17], v[21:22]
	s_delay_alu instid0(VALU_DEP_1) | instskip(NEXT) | instid1(VALU_DEP_1)
	v_fma_f64 v[21:22], v[226:227], s[12:13], v[17:18]
	v_add_f64_e32 v[25:26], v[21:22], v[212:213]
	v_add_f64_e32 v[21:22], v[15:16], v[222:223]
	v_fma_f64 v[15:16], v[226:227], s[12:13], -v[17:18]
	v_add_f64_e32 v[17:18], v[7:8], v[9:10]
	v_add_f64_e64 v[7:8], v[7:8], -v[9:10]
	s_delay_alu instid0(VALU_DEP_3) | instskip(SKIP_1) | instid1(VALU_DEP_3)
	v_add_f64_e32 v[15:16], v[15:16], v[23:24]
	v_add_f64_e32 v[23:24], v[11:12], v[13:14]
	v_mul_f64_e32 v[9:10], s[34:35], v[7:8]
	v_add_f64_e64 v[11:12], v[11:12], -v[13:14]
	s_delay_alu instid0(VALU_DEP_2) | instskip(SKIP_1) | instid1(VALU_DEP_2)
	v_fma_f64 v[13:14], v[23:24], s[36:37], -v[9:10]
	v_fma_f64 v[9:10], v[23:24], s[36:37], v[9:10]
	v_add_f64_e32 v[172:173], v[13:14], v[228:229]
	s_delay_alu instid0(VALU_DEP_4) | instskip(NEXT) | instid1(VALU_DEP_3)
	v_mul_f64_e32 v[13:14], s[34:35], v[11:12]
	v_add_f64_e32 v[208:209], v[9:10], v[232:233]
	s_delay_alu instid0(VALU_DEP_2) | instskip(SKIP_1) | instid1(VALU_DEP_2)
	v_fma_f64 v[9:10], v[17:18], s[36:37], -v[13:14]
	v_fma_f64 v[174:175], v[17:18], s[36:37], v[13:14]
	v_add_f64_e32 v[210:211], v[9:10], v[234:235]
	v_mul_f64_e32 v[9:10], s[38:39], v[7:8]
	s_delay_alu instid0(VALU_DEP_3) | instskip(NEXT) | instid1(VALU_DEP_2)
	v_add_f64_e32 v[174:175], v[174:175], v[230:231]
	v_fma_f64 v[13:14], v[23:24], s[24:25], -v[9:10]
	v_fma_f64 v[9:10], v[23:24], s[24:25], v[9:10]
	s_delay_alu instid0(VALU_DEP_2) | instskip(SKIP_1) | instid1(VALU_DEP_3)
	v_add_f64_e32 v[180:181], v[13:14], v[180:181]
	v_mul_f64_e32 v[13:14], s[38:39], v[11:12]
	v_add_f64_e32 v[176:177], v[9:10], v[176:177]
	s_delay_alu instid0(VALU_DEP_2) | instskip(SKIP_1) | instid1(VALU_DEP_2)
	v_fma_f64 v[9:10], v[17:18], s[24:25], -v[13:14]
	v_fma_f64 v[186:187], v[17:18], s[24:25], v[13:14]
	v_add_f64_e32 v[178:179], v[9:10], v[178:179]
	v_mul_f64_e32 v[9:10], s[30:31], v[7:8]
	s_delay_alu instid0(VALU_DEP_3) | instskip(NEXT) | instid1(VALU_DEP_2)
	v_add_f64_e32 v[182:183], v[186:187], v[182:183]
	v_fma_f64 v[13:14], v[23:24], s[28:29], -v[9:10]
	v_fma_f64 v[9:10], v[23:24], s[28:29], v[9:10]
	s_delay_alu instid0(VALU_DEP_2) | instskip(SKIP_1) | instid1(VALU_DEP_3)
	v_add_f64_e32 v[188:189], v[13:14], v[63:64]
	v_mul_f64_e32 v[13:14], s[30:31], v[11:12]
	v_add_f64_e32 v[184:185], v[9:10], v[184:185]
	s_delay_alu instid0(VALU_DEP_2) | instskip(SKIP_1) | instid1(VALU_DEP_2)
	v_fma_f64 v[9:10], v[17:18], s[28:29], -v[13:14]
	v_fma_f64 v[63:64], v[17:18], s[28:29], v[13:14]
	v_add_f64_e32 v[186:187], v[9:10], v[61:62]
	v_mul_f64_e32 v[9:10], s[44:45], v[7:8]
	s_delay_alu instid0(VALU_DEP_3) | instskip(SKIP_1) | instid1(VALU_DEP_3)
	v_add_f64_e32 v[190:191], v[63:64], v[65:66]
	v_mov_b32_e32 v66, v247
	v_fma_f64 v[13:14], v[23:24], s[18:19], -v[9:10]
	v_fma_f64 v[9:10], v[23:24], s[18:19], v[9:10]
	s_delay_alu instid0(VALU_DEP_2) | instskip(SKIP_1) | instid1(VALU_DEP_3)
	v_add_f64_e32 v[196:197], v[13:14], v[57:58]
	v_mul_f64_e32 v[13:14], s[44:45], v[11:12]
	v_add_f64_e32 v[192:193], v[9:10], v[55:56]
	s_delay_alu instid0(VALU_DEP_2) | instskip(SKIP_1) | instid1(VALU_DEP_2)
	v_fma_f64 v[9:10], v[17:18], s[18:19], -v[13:14]
	v_fma_f64 v[57:58], v[17:18], s[18:19], v[13:14]
	v_add_f64_e32 v[194:195], v[9:10], v[53:54]
	v_mul_f64_e32 v[9:10], s[22:23], v[7:8]
	s_delay_alu instid0(VALU_DEP_3) | instskip(NEXT) | instid1(VALU_DEP_2)
	v_add_f64_e32 v[198:199], v[57:58], v[59:60]
	v_fma_f64 v[13:14], v[23:24], s[20:21], -v[9:10]
	v_fma_f64 v[9:10], v[23:24], s[20:21], v[9:10]
	s_delay_alu instid0(VALU_DEP_2) | instskip(SKIP_1) | instid1(VALU_DEP_3)
	v_add_f64_e32 v[212:213], v[13:14], v[49:50]
	v_mul_f64_e32 v[13:14], s[22:23], v[11:12]
	v_add_f64_e32 v[200:201], v[9:10], v[47:48]
	s_delay_alu instid0(VALU_DEP_2) | instskip(SKIP_1) | instid1(VALU_DEP_2)
	v_fma_f64 v[9:10], v[17:18], s[20:21], -v[13:14]
	v_fma_f64 v[49:50], v[17:18], s[20:21], v[13:14]
	v_add_f64_e32 v[202:203], v[9:10], v[45:46]
	v_mul_f64_e32 v[9:10], s[26:27], v[7:8]
	s_delay_alu instid0(VALU_DEP_3) | instskip(NEXT) | instid1(VALU_DEP_2)
	v_add_f64_e32 v[214:215], v[49:50], v[51:52]
	v_fma_f64 v[13:14], v[23:24], s[14:15], -v[9:10]
	v_fma_f64 v[9:10], v[23:24], s[14:15], v[9:10]
	s_delay_alu instid0(VALU_DEP_2) | instskip(SKIP_1) | instid1(VALU_DEP_1)
	v_add_f64_e32 v[41:42], v[13:14], v[41:42]
	v_mul_f64_e32 v[13:14], s[26:27], v[11:12]
	v_fma_f64 v[45:46], v[17:18], s[14:15], v[13:14]
	s_delay_alu instid0(VALU_DEP_1) | instskip(SKIP_2) | instid1(VALU_DEP_1)
	v_add_f64_e32 v[43:44], v[45:46], v[43:44]
	v_add_f64_e32 v[45:46], v[9:10], v[39:40]
	v_fma_f64 v[9:10], v[17:18], s[14:15], -v[13:14]
	v_add_f64_e32 v[47:48], v[9:10], v[37:38]
	v_mul_f64_e32 v[9:10], s[16:17], v[7:8]
	s_delay_alu instid0(VALU_DEP_1) | instskip(SKIP_1) | instid1(VALU_DEP_2)
	v_fma_f64 v[13:14], v[23:24], s[12:13], -v[9:10]
	v_fma_f64 v[9:10], v[23:24], s[12:13], v[9:10]
	v_add_f64_e32 v[33:34], v[13:14], v[33:34]
	v_mul_f64_e32 v[13:14], s[16:17], v[11:12]
	s_delay_alu instid0(VALU_DEP_1) | instskip(NEXT) | instid1(VALU_DEP_1)
	v_fma_f64 v[37:38], v[17:18], s[12:13], v[13:14]
	v_add_f64_e32 v[35:36], v[37:38], v[35:36]
	v_add_f64_e32 v[37:38], v[9:10], v[31:32]
	v_fma_f64 v[9:10], v[17:18], s[12:13], -v[13:14]
	v_mul_f64_e32 v[13:14], s[48:49], v[7:8]
	s_delay_alu instid0(VALU_DEP_2) | instskip(NEXT) | instid1(VALU_DEP_2)
	v_add_f64_e32 v[39:40], v[9:10], v[29:30]
	v_fma_f64 v[7:8], v[23:24], s[0:1], -v[13:14]
	s_delay_alu instid0(VALU_DEP_1) | instskip(SKIP_2) | instid1(VALU_DEP_2)
	v_add_f64_e32 v[7:8], v[7:8], v[27:28]
	v_mul_f64_e32 v[27:28], s[48:49], v[11:12]
	v_fma_f64 v[11:12], v[23:24], s[0:1], v[13:14]
	v_fma_f64 v[9:10], v[17:18], s[0:1], v[27:28]
	v_fma_f64 v[13:14], v[17:18], s[0:1], -v[27:28]
	s_delay_alu instid0(VALU_DEP_3) | instskip(SKIP_1) | instid1(VALU_DEP_4)
	v_add_f64_e32 v[11:12], v[11:12], v[21:22]
	v_cmp_lt_u16_e64 s0, 33, v68
	v_add_f64_e32 v[9:10], v[9:10], v[25:26]
	s_delay_alu instid0(VALU_DEP_4) | instskip(SKIP_1) | instid1(VALU_DEP_3)
	v_add_f64_e32 v[13:14], v[13:14], v[15:16]
	s_wait_alu 0xf1ff
	v_cndmask_b32_e64 v15, 0, 0x242, s0
	s_delay_alu instid0(VALU_DEP_1) | instskip(NEXT) | instid1(VALU_DEP_1)
	v_add_nc_u32_e32 v6, v6, v15
	v_lshl_add_u32 v65, v6, 4, v66
	ds_store_b128 v65, v[168:171]
	ds_store_b128 v65, v[172:175] offset:544
	ds_store_b128 v65, v[180:183] offset:1088
	;; [unrolled: 1-line block ×16, first 2 shown]
	global_wb scope:SCOPE_SE
	s_wait_dscnt 0x0
	s_barrier_signal -1
	s_barrier_wait -1
	global_inv scope:SCOPE_SE
	ds_load_b128 v[236:239], v20
	ds_load_b128 v[176:179], v20 offset:9248
	ds_load_b128 v[232:235], v20 offset:1088
	;; [unrolled: 1-line block ×15, first 2 shown]
	s_and_saveexec_b32 s0, vcc_lo
	s_cbranch_execz .LBB0_7
; %bb.6:
	ds_load_b128 v[208:211], v20 offset:8704
	ds_load_b128 v[204:207], v20 offset:17952
	v_dual_mov_b32 v5, v3 :: v_dual_mov_b32 v4, v2
.LBB0_7:
	s_wait_alu 0xfffe
	s_or_b32 exec_lo, exec_lo, s0
	global_load_b128 v[120:123], v244, s[10:11] offset:8976
	s_wait_loadcnt_dscnt 0xe
	v_mul_f64_e32 v[2:3], v[178:179], v[122:123]
	v_mul_f64_e32 v[6:7], v[176:177], v[122:123]
	s_delay_alu instid0(VALU_DEP_2) | instskip(NEXT) | instid1(VALU_DEP_2)
	v_fma_f64 v[2:3], v[176:177], v[120:121], -v[2:3]
	v_fma_f64 v[8:9], v[178:179], v[120:121], v[6:7]
	global_load_b128 v[176:179], v244, s[10:11] offset:10064
	v_add_f64_e64 v[8:9], v[238:239], -v[8:9]
	s_delay_alu instid0(VALU_DEP_1) | instskip(SKIP_2) | instid1(VALU_DEP_1)
	v_fma_f64 v[12:13], v[238:239], 2.0, -v[8:9]
	s_wait_loadcnt_dscnt 0xc
	v_mul_f64_e32 v[6:7], v[182:183], v[178:179]
	v_fma_f64 v[14:15], v[180:181], v[176:177], -v[6:7]
	v_mul_f64_e32 v[6:7], v[180:181], v[178:179]
	s_delay_alu instid0(VALU_DEP_2) | instskip(NEXT) | instid1(VALU_DEP_2)
	v_add_f64_e64 v[14:15], v[232:233], -v[14:15]
	v_fma_f64 v[16:17], v[182:183], v[176:177], v[6:7]
	global_load_b128 v[180:183], v244, s[10:11] offset:11152
	v_fma_f64 v[21:22], v[232:233], 2.0, -v[14:15]
	v_add_f64_e64 v[16:17], v[234:235], -v[16:17]
	s_delay_alu instid0(VALU_DEP_1) | instskip(SKIP_2) | instid1(VALU_DEP_1)
	v_fma_f64 v[23:24], v[234:235], 2.0, -v[16:17]
	s_wait_loadcnt_dscnt 0xa
	v_mul_f64_e32 v[6:7], v[186:187], v[182:183]
	v_fma_f64 v[18:19], v[184:185], v[180:181], -v[6:7]
	v_mul_f64_e32 v[6:7], v[184:185], v[182:183]
	s_delay_alu instid0(VALU_DEP_2) | instskip(NEXT) | instid1(VALU_DEP_2)
	v_add_f64_e64 v[25:26], v[228:229], -v[18:19]
	v_fma_f64 v[27:28], v[186:187], v[180:181], v[6:7]
	global_load_b128 v[184:187], v244, s[10:11] offset:12240
	scratch_load_b32 v18, off, off          ; 4-byte Folded Reload
	v_fma_f64 v[29:30], v[228:229], 2.0, -v[25:26]
	v_add_f64_e64 v[27:28], v[230:231], -v[27:28]
	s_delay_alu instid0(VALU_DEP_1) | instskip(SKIP_4) | instid1(VALU_DEP_2)
	v_fma_f64 v[31:32], v[230:231], 2.0, -v[27:28]
	s_wait_loadcnt_dscnt 0x108
	v_mul_f64_e32 v[6:7], v[190:191], v[186:187]
	s_wait_loadcnt 0x0
	v_lshl_add_u32 v18, v18, 4, v66
	v_fma_f64 v[33:34], v[188:189], v[184:185], -v[6:7]
	v_mul_f64_e32 v[6:7], v[188:189], v[186:187]
	s_delay_alu instid0(VALU_DEP_2) | instskip(NEXT) | instid1(VALU_DEP_2)
	v_add_f64_e64 v[33:34], v[224:225], -v[33:34]
	v_fma_f64 v[35:36], v[190:191], v[184:185], v[6:7]
	global_load_b128 v[188:191], v244, s[10:11] offset:13328
	v_fma_f64 v[37:38], v[224:225], 2.0, -v[33:34]
	v_add_f64_e64 v[35:36], v[226:227], -v[35:36]
	s_delay_alu instid0(VALU_DEP_1) | instskip(SKIP_2) | instid1(VALU_DEP_1)
	v_fma_f64 v[39:40], v[226:227], 2.0, -v[35:36]
	s_wait_loadcnt_dscnt 0x6
	v_mul_f64_e32 v[6:7], v[194:195], v[190:191]
	v_fma_f64 v[41:42], v[192:193], v[188:189], -v[6:7]
	v_mul_f64_e32 v[6:7], v[192:193], v[190:191]
	s_delay_alu instid0(VALU_DEP_2) | instskip(NEXT) | instid1(VALU_DEP_2)
	v_add_f64_e64 v[41:42], v[220:221], -v[41:42]
	v_fma_f64 v[43:44], v[194:195], v[188:189], v[6:7]
	global_load_b128 v[192:195], v244, s[10:11] offset:14416
	v_fma_f64 v[45:46], v[220:221], 2.0, -v[41:42]
	v_add_f64_e64 v[43:44], v[222:223], -v[43:44]
	s_delay_alu instid0(VALU_DEP_1) | instskip(SKIP_2) | instid1(VALU_DEP_1)
	v_fma_f64 v[47:48], v[222:223], 2.0, -v[43:44]
	s_wait_loadcnt_dscnt 0x4
	v_mul_f64_e32 v[6:7], v[198:199], v[194:195]
	;; [unrolled: 12-line block ×4, first 2 shown]
	v_fma_f64 v[245:246], v[240:241], v[200:201], -v[6:7]
	v_mul_f64_e32 v[6:7], v[240:241], v[202:203]
	s_delay_alu instid0(VALU_DEP_2) | instskip(NEXT) | instid1(VALU_DEP_2)
	v_add_f64_e64 v[212:213], v[172:173], -v[245:246]
	v_fma_f64 v[240:241], v[242:243], v[200:201], v[6:7]
	v_add_f64_e64 v[6:7], v[236:237], -v[2:3]
	v_lshlrev_b64_e32 v[2:3], 4, v[4:5]
	s_delay_alu instid0(VALU_DEP_1) | instskip(SKIP_1) | instid1(VALU_DEP_2)
	v_add_co_u32 v2, s0, s10, v2
	s_wait_alu 0xf1ff
	v_add_co_ci_u32_e64 v3, s0, s11, v3, s0
	global_load_b128 v[68:71], v[2:3], off offset:8976
	v_fma_f64 v[216:217], v[172:173], 2.0, -v[212:213]
	v_add_f64_e64 v[214:215], v[174:175], -v[240:241]
	v_fma_f64 v[10:11], v[236:237], 2.0, -v[6:7]
	s_delay_alu instid0(VALU_DEP_2)
	v_fma_f64 v[218:219], v[174:175], 2.0, -v[214:215]
	s_wait_loadcnt 0x0
	v_mul_f64_e32 v[2:3], v[206:207], v[70:71]
	v_mul_f64_e32 v[4:5], v[204:205], v[70:71]
	scratch_store_b128 off, v[68:71], off offset:428 ; 16-byte Folded Spill
	ds_store_b128 v18, v[6:9] offset:9248
	ds_store_b128 v20, v[10:13]
	ds_store_b128 v20, v[21:24] offset:1088
	ds_store_b128 v18, v[14:17] offset:10336
	;; [unrolled: 1-line block ×9, first 2 shown]
	scratch_store_b32 off, v18, off offset:4 ; 4-byte Folded Spill
	ds_store_b128 v18, v[49:52] offset:14688
	ds_store_b128 v20, v[61:64] offset:6528
	;; [unrolled: 1-line block ×5, first 2 shown]
	v_fma_f64 v[2:3], v[204:205], v[68:69], -v[2:3]
	v_fma_f64 v[4:5], v[206:207], v[68:69], v[4:5]
	s_delay_alu instid0(VALU_DEP_2) | instskip(NEXT) | instid1(VALU_DEP_2)
	v_add_f64_e64 v[204:205], v[208:209], -v[2:3]
	v_add_f64_e64 v[206:207], v[210:211], -v[4:5]
	s_and_saveexec_b32 s0, vcc_lo
	s_cbranch_execz .LBB0_9
; %bb.8:
	s_delay_alu instid0(VALU_DEP_1) | instskip(NEXT) | instid1(VALU_DEP_3)
	v_fma_f64 v[4:5], v[210:211], 2.0, -v[206:207]
	v_fma_f64 v[2:3], v[208:209], 2.0, -v[204:205]
	ds_store_b128 v20, v[2:5] offset:8704
	scratch_load_b32 v2, off, off offset:4  ; 4-byte Folded Reload
	s_wait_loadcnt 0x0
	ds_store_b128 v2, v[204:207] offset:17952
.LBB0_9:
	s_wait_alu 0xfffe
	s_or_b32 exec_lo, exec_lo, s0
	global_wb scope:SCOPE_SE
	s_wait_storecnt_dscnt 0x0
	s_barrier_signal -1
	s_barrier_wait -1
	global_inv scope:SCOPE_SE
	global_load_b128 v[6:9], v[0:1], off offset:18496
	ds_load_b128 v[2:5], v20
	s_add_nc_u64 s[0:1], s[8:9], 0x4840
	s_mov_b32 s46, 0x5d8e7cdc
	s_mov_b32 s36, 0x2a9d6da3
	;; [unrolled: 1-line block ×33, first 2 shown]
	s_wait_alu 0xfffe
	s_mov_b32 s44, s46
	s_mov_b32 s35, 0x3fe58eea
	;; [unrolled: 1-line block ×13, first 2 shown]
	s_wait_loadcnt_dscnt 0x0
	v_mul_f64_e32 v[0:1], v[4:5], v[8:9]
	s_delay_alu instid0(VALU_DEP_1) | instskip(SKIP_1) | instid1(VALU_DEP_1)
	v_fma_f64 v[0:1], v[2:3], v[6:7], -v[0:1]
	v_mul_f64_e32 v[2:3], v[2:3], v[8:9]
	v_fma_f64 v[2:3], v[4:5], v[6:7], v[2:3]
	global_load_b128 v[4:7], v244, s[0:1] offset:1088
	ds_store_b128 v20, v[0:3]
	ds_load_b128 v[0:3], v20 offset:1088
	s_wait_loadcnt_dscnt 0x0
	v_mul_f64_e32 v[8:9], v[2:3], v[6:7]
	s_delay_alu instid0(VALU_DEP_1) | instskip(SKIP_1) | instid1(VALU_DEP_1)
	v_fma_f64 v[8:9], v[0:1], v[4:5], -v[8:9]
	v_mul_f64_e32 v[0:1], v[0:1], v[6:7]
	v_fma_f64 v[10:11], v[2:3], v[4:5], v[0:1]
	global_load_b128 v[4:7], v244, s[0:1] offset:2176
	ds_load_b128 v[0:3], v20 offset:2176
	ds_store_b128 v20, v[8:11] offset:1088
	s_wait_loadcnt_dscnt 0x1
	v_mul_f64_e32 v[8:9], v[2:3], v[6:7]
	s_delay_alu instid0(VALU_DEP_1) | instskip(SKIP_1) | instid1(VALU_DEP_1)
	v_fma_f64 v[8:9], v[0:1], v[4:5], -v[8:9]
	v_mul_f64_e32 v[0:1], v[0:1], v[6:7]
	v_fma_f64 v[10:11], v[2:3], v[4:5], v[0:1]
	global_load_b128 v[4:7], v244, s[0:1] offset:3264
	ds_load_b128 v[0:3], v20 offset:3264
	ds_store_b128 v20, v[8:11] offset:2176
	;; [unrolled: 9-line block ×14, first 2 shown]
	s_wait_loadcnt_dscnt 0x1
	v_mul_f64_e32 v[8:9], v[2:3], v[6:7]
	s_delay_alu instid0(VALU_DEP_1) | instskip(SKIP_1) | instid1(VALU_DEP_1)
	v_fma_f64 v[8:9], v[0:1], v[4:5], -v[8:9]
	v_mul_f64_e32 v[0:1], v[0:1], v[6:7]
	v_fma_f64 v[10:11], v[2:3], v[4:5], v[0:1]
	global_load_b128 v[4:7], v244, s[0:1] offset:17408
	ds_load_b128 v[0:3], v20 offset:17408
	s_mov_b32 s1, 0x3fefdd0d
	s_mov_b32 s0, s10
	ds_store_b128 v20, v[8:11] offset:16320
	s_wait_loadcnt_dscnt 0x1
	v_mul_f64_e32 v[8:9], v[2:3], v[6:7]
	s_delay_alu instid0(VALU_DEP_1) | instskip(SKIP_1) | instid1(VALU_DEP_1)
	v_fma_f64 v[8:9], v[0:1], v[4:5], -v[8:9]
	v_mul_f64_e32 v[0:1], v[0:1], v[6:7]
	v_fma_f64 v[10:11], v[2:3], v[4:5], v[0:1]
	ds_store_b128 v20, v[8:11] offset:17408
	global_wb scope:SCOPE_SE
	s_wait_dscnt 0x0
	s_barrier_signal -1
	s_barrier_wait -1
	global_inv scope:SCOPE_SE
	ds_load_b128 v[0:3], v20
	ds_load_b128 v[4:7], v20 offset:1088
	ds_load_b128 v[8:11], v20 offset:2176
	;; [unrolled: 1-line block ×16, first 2 shown]
	global_wb scope:SCOPE_SE
	s_wait_dscnt 0x0
	s_barrier_signal -1
	s_barrier_wait -1
	global_inv scope:SCOPE_SE
	v_add_f64_e32 v[39:40], v[2:3], v[6:7]
	v_add_f64_e32 v[37:38], v[0:1], v[4:5]
	s_delay_alu instid0(VALU_DEP_2) | instskip(NEXT) | instid1(VALU_DEP_2)
	v_add_f64_e32 v[39:40], v[39:40], v[10:11]
	v_add_f64_e32 v[37:38], v[37:38], v[8:9]
	s_delay_alu instid0(VALU_DEP_2) | instskip(NEXT) | instid1(VALU_DEP_2)
	;; [unrolled: 3-line block ×14, first 2 shown]
	v_add_f64_e32 v[39:40], v[39:40], v[31:32]
	v_add_f64_e32 v[37:38], v[37:38], v[29:30]
	s_delay_alu instid0(VALU_DEP_2) | instskip(SKIP_2) | instid1(VALU_DEP_4)
	v_add_f64_e32 v[170:171], v[39:40], v[35:36]
	v_add_f64_e32 v[39:40], v[6:7], v[35:36]
	v_add_f64_e64 v[6:7], v[6:7], -v[35:36]
	v_add_f64_e32 v[168:169], v[37:38], v[33:34]
	v_add_f64_e32 v[37:38], v[4:5], v[33:34]
	v_add_f64_e64 v[4:5], v[4:5], -v[33:34]
	v_mul_f64_e32 v[41:42], s[42:43], v[39:40]
	v_mul_f64_e32 v[33:34], s[46:47], v[6:7]
	;; [unrolled: 1-line block ×16, first 2 shown]
	s_wait_alu 0xfffe
	v_fma_f64 v[43:44], v[4:5], s[44:45], v[41:42]
	v_fma_f64 v[35:36], v[37:38], s[42:43], v[33:34]
	v_fma_f64 v[33:34], v[37:38], s[42:43], -v[33:34]
	v_fma_f64 v[47:48], v[37:38], s[30:31], v[45:46]
	v_fma_f64 v[45:46], v[37:38], s[30:31], -v[45:46]
	;; [unrolled: 2-line block ×8, first 2 shown]
	v_fma_f64 v[41:42], v[4:5], s[46:47], v[41:42]
	v_fma_f64 v[51:52], v[4:5], s[34:35], v[49:50]
	;; [unrolled: 1-line block ×15, first 2 shown]
	v_add_f64_e32 v[43:44], v[2:3], v[43:44]
	v_add_f64_e32 v[35:36], v[0:1], v[35:36]
	;; [unrolled: 1-line block ×18, first 2 shown]
	v_add_f64_e64 v[10:11], v[10:11], -v[31:32]
	v_add_f64_e32 v[41:42], v[2:3], v[41:42]
	v_add_f64_e32 v[51:52], v[2:3], v[51:52]
	;; [unrolled: 1-line block ×16, first 2 shown]
	v_add_f64_e64 v[8:9], v[8:9], -v[29:30]
	v_mul_f64_e32 v[29:30], s[36:37], v[10:11]
	s_delay_alu instid0(VALU_DEP_1) | instskip(SKIP_1) | instid1(VALU_DEP_2)
	v_fma_f64 v[31:32], v[4:5], s[30:31], v[29:30]
	v_fma_f64 v[29:30], v[4:5], s[30:31], -v[29:30]
	v_add_f64_e32 v[31:32], v[31:32], v[35:36]
	v_mul_f64_e32 v[35:36], s[30:31], v[6:7]
	s_delay_alu instid0(VALU_DEP_3) | instskip(NEXT) | instid1(VALU_DEP_2)
	v_add_f64_e32 v[29:30], v[29:30], v[33:34]
	v_fma_f64 v[37:38], v[8:9], s[34:35], v[35:36]
	v_fma_f64 v[33:34], v[8:9], s[36:37], v[35:36]
	v_mul_f64_e32 v[35:36], s[10:11], v[10:11]
	s_delay_alu instid0(VALU_DEP_3) | instskip(NEXT) | instid1(VALU_DEP_3)
	v_add_f64_e32 v[37:38], v[37:38], v[43:44]
	v_add_f64_e32 v[33:34], v[33:34], v[41:42]
	s_delay_alu instid0(VALU_DEP_3) | instskip(SKIP_2) | instid1(VALU_DEP_3)
	v_fma_f64 v[39:40], v[4:5], s[8:9], v[35:36]
	v_fma_f64 v[35:36], v[4:5], s[8:9], -v[35:36]
	v_mul_f64_e32 v[41:42], s[8:9], v[6:7]
	v_add_f64_e32 v[39:40], v[39:40], v[47:48]
	s_delay_alu instid0(VALU_DEP_3) | instskip(SKIP_1) | instid1(VALU_DEP_4)
	v_add_f64_e32 v[35:36], v[35:36], v[45:46]
	v_mul_f64_e32 v[45:46], s[24:25], v[10:11]
	v_fma_f64 v[43:44], v[8:9], s[0:1], v[41:42]
	v_fma_f64 v[41:42], v[8:9], s[10:11], v[41:42]
	s_delay_alu instid0(VALU_DEP_3) | instskip(SKIP_1) | instid1(VALU_DEP_3)
	v_fma_f64 v[47:48], v[4:5], s[26:27], v[45:46]
	v_fma_f64 v[45:46], v[4:5], s[26:27], -v[45:46]
	v_add_f64_e32 v[41:42], v[41:42], v[49:50]
	v_mul_f64_e32 v[49:50], s[26:27], v[6:7]
	v_add_f64_e32 v[43:44], v[43:44], v[51:52]
	v_add_f64_e32 v[47:48], v[47:48], v[55:56]
	v_add_f64_e32 v[45:46], v[45:46], v[53:54]
	v_mul_f64_e32 v[53:54], s[50:51], v[10:11]
	v_fma_f64 v[51:52], v[8:9], s[28:29], v[49:50]
	v_fma_f64 v[49:50], v[8:9], s[24:25], v[49:50]
	s_delay_alu instid0(VALU_DEP_3) | instskip(SKIP_1) | instid1(VALU_DEP_3)
	v_fma_f64 v[55:56], v[4:5], s[52:53], v[53:54]
	v_fma_f64 v[53:54], v[4:5], s[52:53], -v[53:54]
	v_add_f64_e32 v[49:50], v[49:50], v[57:58]
	v_mul_f64_e32 v[57:58], s[52:53], v[6:7]
	v_add_f64_e32 v[51:52], v[51:52], v[59:60]
	v_add_f64_e32 v[55:56], v[55:56], v[63:64]
	;; [unrolled: 11-line block ×3, first 2 shown]
	v_add_f64_e32 v[61:62], v[61:62], v[248:249]
	v_mul_f64_e32 v[248:249], s[16:17], v[10:11]
	v_fma_f64 v[246:247], v[8:9], s[38:39], v[244:245]
	v_fma_f64 v[244:245], v[8:9], s[48:49], v[244:245]
	s_delay_alu instid0(VALU_DEP_3) | instskip(SKIP_1) | instid1(VALU_DEP_3)
	v_fma_f64 v[250:251], v[4:5], s[14:15], v[248:249]
	v_fma_f64 v[248:249], v[4:5], s[14:15], -v[248:249]
	v_add_f64_e32 v[244:245], v[244:245], v[252:253]
	v_add_f64_e32 v[246:247], v[246:247], v[254:255]
	s_delay_alu instid0(VALU_DEP_4) | instskip(SKIP_2) | instid1(VALU_DEP_2)
	v_add_f64_e32 v[174:175], v[250:251], v[174:175]
	v_mul_f64_e32 v[250:251], s[14:15], v[6:7]
	v_add_f64_e32 v[172:173], v[248:249], v[172:173]
	v_fma_f64 v[248:249], v[8:9], s[16:17], v[250:251]
	v_fma_f64 v[252:253], v[8:9], s[12:13], v[250:251]
	s_delay_alu instid0(VALU_DEP_2) | instskip(SKIP_2) | instid1(VALU_DEP_4)
	v_add_f64_e32 v[68:69], v[248:249], v[68:69]
	v_mul_f64_e32 v[248:249], s[20:21], v[10:11]
	v_mul_f64_e32 v[10:11], s[44:45], v[10:11]
	v_add_f64_e32 v[70:71], v[252:253], v[70:71]
	s_delay_alu instid0(VALU_DEP_3) | instskip(SKIP_1) | instid1(VALU_DEP_2)
	v_fma_f64 v[250:251], v[4:5], s[18:19], v[248:249]
	v_fma_f64 v[248:249], v[4:5], s[18:19], -v[248:249]
	v_add_f64_e32 v[74:75], v[250:251], v[74:75]
	v_mul_f64_e32 v[250:251], s[18:19], v[6:7]
	s_delay_alu instid0(VALU_DEP_3) | instskip(SKIP_1) | instid1(VALU_DEP_3)
	v_add_f64_e32 v[72:73], v[248:249], v[72:73]
	v_mul_f64_e32 v[6:7], s[42:43], v[6:7]
	v_fma_f64 v[248:249], v[8:9], s[20:21], v[250:251]
	v_fma_f64 v[252:253], v[8:9], s[22:23], v[250:251]
	s_delay_alu instid0(VALU_DEP_2) | instskip(SKIP_4) | instid1(VALU_DEP_4)
	v_add_f64_e32 v[76:77], v[248:249], v[76:77]
	v_fma_f64 v[248:249], v[4:5], s[42:43], v[10:11]
	v_fma_f64 v[4:5], v[4:5], s[42:43], -v[10:11]
	v_add_f64_e64 v[10:11], v[14:15], -v[27:28]
	v_add_f64_e32 v[78:79], v[252:253], v[78:79]
	v_add_f64_e32 v[208:209], v[248:249], v[208:209]
	s_delay_alu instid0(VALU_DEP_4) | instskip(SKIP_4) | instid1(VALU_DEP_4)
	v_add_f64_e32 v[0:1], v[4:5], v[0:1]
	v_fma_f64 v[4:5], v[8:9], s[44:45], v[6:7]
	v_fma_f64 v[248:249], v[8:9], s[46:47], v[6:7]
	v_add_f64_e64 v[8:9], v[12:13], -v[25:26]
	v_add_f64_e32 v[6:7], v[14:15], v[27:28]
	v_add_f64_e32 v[2:3], v[4:5], v[2:3]
	;; [unrolled: 1-line block ×3, first 2 shown]
	v_mul_f64_e32 v[12:13], s[22:23], v[10:11]
	s_delay_alu instid0(VALU_DEP_4) | instskip(SKIP_1) | instid1(VALU_DEP_3)
	v_mul_f64_e32 v[25:26], s[18:19], v[6:7]
	v_add_f64_e32 v[210:211], v[248:249], v[210:211]
	v_fma_f64 v[14:15], v[4:5], s[18:19], v[12:13]
	v_fma_f64 v[12:13], v[4:5], s[18:19], -v[12:13]
	s_delay_alu instid0(VALU_DEP_4) | instskip(SKIP_1) | instid1(VALU_DEP_4)
	v_fma_f64 v[27:28], v[8:9], s[20:21], v[25:26]
	v_fma_f64 v[25:26], v[8:9], s[22:23], v[25:26]
	v_add_f64_e32 v[14:15], v[14:15], v[31:32]
	s_delay_alu instid0(VALU_DEP_4) | instskip(SKIP_1) | instid1(VALU_DEP_4)
	v_add_f64_e32 v[12:13], v[12:13], v[29:30]
	v_mul_f64_e32 v[29:30], s[24:25], v[10:11]
	v_add_f64_e32 v[25:26], v[25:26], v[33:34]
	v_mul_f64_e32 v[33:34], s[26:27], v[6:7]
	v_add_f64_e32 v[27:28], v[27:28], v[37:38]
	s_delay_alu instid0(VALU_DEP_4) | instskip(SKIP_1) | instid1(VALU_DEP_4)
	v_fma_f64 v[31:32], v[4:5], s[26:27], v[29:30]
	v_fma_f64 v[29:30], v[4:5], s[26:27], -v[29:30]
	v_fma_f64 v[37:38], v[8:9], s[28:29], v[33:34]
	v_fma_f64 v[33:34], v[8:9], s[24:25], v[33:34]
	s_delay_alu instid0(VALU_DEP_4) | instskip(NEXT) | instid1(VALU_DEP_4)
	v_add_f64_e32 v[31:32], v[31:32], v[39:40]
	v_add_f64_e32 v[29:30], v[29:30], v[35:36]
	v_mul_f64_e32 v[35:36], s[54:55], v[10:11]
	s_delay_alu instid0(VALU_DEP_4) | instskip(SKIP_2) | instid1(VALU_DEP_4)
	v_add_f64_e32 v[33:34], v[33:34], v[41:42]
	v_mul_f64_e32 v[41:42], s[52:53], v[6:7]
	v_add_f64_e32 v[37:38], v[37:38], v[43:44]
	v_fma_f64 v[39:40], v[4:5], s[52:53], v[35:36]
	v_fma_f64 v[35:36], v[4:5], s[52:53], -v[35:36]
	s_delay_alu instid0(VALU_DEP_4) | instskip(SKIP_1) | instid1(VALU_DEP_4)
	v_fma_f64 v[43:44], v[8:9], s[50:51], v[41:42]
	v_fma_f64 v[41:42], v[8:9], s[54:55], v[41:42]
	v_add_f64_e32 v[39:40], v[39:40], v[47:48]
	s_delay_alu instid0(VALU_DEP_4) | instskip(SKIP_1) | instid1(VALU_DEP_4)
	v_add_f64_e32 v[35:36], v[35:36], v[45:46]
	v_mul_f64_e32 v[45:46], s[16:17], v[10:11]
	v_add_f64_e32 v[41:42], v[41:42], v[49:50]
	v_mul_f64_e32 v[49:50], s[14:15], v[6:7]
	v_add_f64_e32 v[43:44], v[43:44], v[51:52]
	s_delay_alu instid0(VALU_DEP_4) | instskip(SKIP_1) | instid1(VALU_DEP_4)
	v_fma_f64 v[47:48], v[4:5], s[14:15], v[45:46]
	v_fma_f64 v[45:46], v[4:5], s[14:15], -v[45:46]
	v_fma_f64 v[51:52], v[8:9], s[12:13], v[49:50]
	v_fma_f64 v[49:50], v[8:9], s[16:17], v[49:50]
	s_delay_alu instid0(VALU_DEP_4) | instskip(NEXT) | instid1(VALU_DEP_4)
	v_add_f64_e32 v[47:48], v[47:48], v[55:56]
	v_add_f64_e32 v[45:46], v[45:46], v[53:54]
	v_mul_f64_e32 v[53:54], s[34:35], v[10:11]
	s_delay_alu instid0(VALU_DEP_4) | instskip(SKIP_2) | instid1(VALU_DEP_4)
	v_add_f64_e32 v[49:50], v[49:50], v[57:58]
	v_mul_f64_e32 v[57:58], s[30:31], v[6:7]
	v_add_f64_e32 v[51:52], v[51:52], v[59:60]
	v_fma_f64 v[55:56], v[4:5], s[30:31], v[53:54]
	v_fma_f64 v[53:54], v[4:5], s[30:31], -v[53:54]
	s_delay_alu instid0(VALU_DEP_4) | instskip(SKIP_1) | instid1(VALU_DEP_4)
	v_fma_f64 v[59:60], v[8:9], s[36:37], v[57:58]
	v_fma_f64 v[57:58], v[8:9], s[34:35], v[57:58]
	v_add_f64_e32 v[55:56], v[55:56], v[63:64]
	s_delay_alu instid0(VALU_DEP_4) | instskip(SKIP_1) | instid1(VALU_DEP_4)
	v_add_f64_e32 v[53:54], v[53:54], v[61:62]
	v_mul_f64_e32 v[61:62], s[46:47], v[10:11]
	v_add_f64_e32 v[57:58], v[57:58], v[244:245]
	v_add_f64_e32 v[59:60], v[59:60], v[246:247]
	s_delay_alu instid0(VALU_DEP_3) | instskip(SKIP_1) | instid1(VALU_DEP_2)
	v_fma_f64 v[63:64], v[4:5], s[42:43], v[61:62]
	v_fma_f64 v[61:62], v[4:5], s[42:43], -v[61:62]
	v_add_f64_e32 v[63:64], v[63:64], v[174:175]
	v_mul_f64_e32 v[174:175], s[42:43], v[6:7]
	s_delay_alu instid0(VALU_DEP_3) | instskip(NEXT) | instid1(VALU_DEP_2)
	v_add_f64_e32 v[61:62], v[61:62], v[172:173]
	v_fma_f64 v[172:173], v[8:9], s[46:47], v[174:175]
	v_fma_f64 v[244:245], v[8:9], s[44:45], v[174:175]
	s_delay_alu instid0(VALU_DEP_2) | instskip(SKIP_2) | instid1(VALU_DEP_4)
	v_add_f64_e32 v[68:69], v[172:173], v[68:69]
	v_mul_f64_e32 v[172:173], s[10:11], v[10:11]
	v_mul_f64_e32 v[10:11], s[38:39], v[10:11]
	v_add_f64_e32 v[70:71], v[244:245], v[70:71]
	s_delay_alu instid0(VALU_DEP_3) | instskip(SKIP_1) | instid1(VALU_DEP_2)
	v_fma_f64 v[174:175], v[4:5], s[8:9], v[172:173]
	v_fma_f64 v[172:173], v[4:5], s[8:9], -v[172:173]
	v_add_f64_e32 v[74:75], v[174:175], v[74:75]
	v_mul_f64_e32 v[174:175], s[8:9], v[6:7]
	s_delay_alu instid0(VALU_DEP_3) | instskip(SKIP_1) | instid1(VALU_DEP_3)
	v_add_f64_e32 v[72:73], v[172:173], v[72:73]
	v_mul_f64_e32 v[6:7], s[40:41], v[6:7]
	v_fma_f64 v[172:173], v[8:9], s[10:11], v[174:175]
	v_fma_f64 v[244:245], v[8:9], s[0:1], v[174:175]
	s_delay_alu instid0(VALU_DEP_3) | instskip(NEXT) | instid1(VALU_DEP_3)
	v_fma_f64 v[174:175], v[8:9], s[48:49], v[6:7]
	v_add_f64_e32 v[76:77], v[172:173], v[76:77]
	v_fma_f64 v[172:173], v[4:5], s[40:41], v[10:11]
	v_fma_f64 v[4:5], v[4:5], s[40:41], -v[10:11]
	v_add_f64_e64 v[10:11], v[18:19], -v[23:24]
	v_add_f64_e32 v[78:79], v[244:245], v[78:79]
	v_add_f64_e32 v[174:175], v[174:175], v[210:211]
	;; [unrolled: 1-line block ×4, first 2 shown]
	v_fma_f64 v[4:5], v[8:9], s[38:39], v[6:7]
	v_add_f64_e64 v[8:9], v[16:17], -v[21:22]
	v_add_f64_e32 v[6:7], v[18:19], v[23:24]
	v_add_f64_e64 v[208:209], v[220:221], -v[224:225]
	s_delay_alu instid0(VALU_DEP_4) | instskip(SKIP_2) | instid1(VALU_DEP_1)
	v_add_f64_e32 v[2:3], v[4:5], v[2:3]
	v_add_f64_e32 v[4:5], v[16:17], v[21:22]
	v_mul_f64_e32 v[16:17], s[10:11], v[10:11]
	v_fma_f64 v[18:19], v[4:5], s[8:9], v[16:17]
	v_fma_f64 v[16:17], v[4:5], s[8:9], -v[16:17]
	s_delay_alu instid0(VALU_DEP_2) | instskip(SKIP_1) | instid1(VALU_DEP_3)
	v_add_f64_e32 v[14:15], v[18:19], v[14:15]
	v_mul_f64_e32 v[18:19], s[8:9], v[6:7]
	v_add_f64_e32 v[12:13], v[16:17], v[12:13]
	s_delay_alu instid0(VALU_DEP_2) | instskip(SKIP_2) | instid1(VALU_DEP_3)
	v_fma_f64 v[21:22], v[8:9], s[0:1], v[18:19]
	v_fma_f64 v[16:17], v[8:9], s[10:11], v[18:19]
	v_mul_f64_e32 v[18:19], s[50:51], v[10:11]
	v_add_f64_e32 v[21:22], v[21:22], v[27:28]
	s_delay_alu instid0(VALU_DEP_3) | instskip(NEXT) | instid1(VALU_DEP_3)
	v_add_f64_e32 v[16:17], v[16:17], v[25:26]
	v_fma_f64 v[23:24], v[4:5], s[52:53], v[18:19]
	v_fma_f64 v[18:19], v[4:5], s[52:53], -v[18:19]
	v_mul_f64_e32 v[25:26], s[52:53], v[6:7]
	s_delay_alu instid0(VALU_DEP_3) | instskip(NEXT) | instid1(VALU_DEP_3)
	v_add_f64_e32 v[23:24], v[23:24], v[31:32]
	v_add_f64_e32 v[18:19], v[18:19], v[29:30]
	v_mul_f64_e32 v[29:30], s[16:17], v[10:11]
	s_delay_alu instid0(VALU_DEP_4) | instskip(SKIP_1) | instid1(VALU_DEP_3)
	v_fma_f64 v[27:28], v[8:9], s[54:55], v[25:26]
	v_fma_f64 v[25:26], v[8:9], s[50:51], v[25:26]
	;; [unrolled: 1-line block ×3, first 2 shown]
	v_fma_f64 v[29:30], v[4:5], s[14:15], -v[29:30]
	s_delay_alu instid0(VALU_DEP_3)
	v_add_f64_e32 v[25:26], v[25:26], v[33:34]
	v_mul_f64_e32 v[33:34], s[14:15], v[6:7]
	v_add_f64_e32 v[27:28], v[27:28], v[37:38]
	v_add_f64_e32 v[31:32], v[31:32], v[39:40]
	v_add_f64_e32 v[29:30], v[29:30], v[35:36]
	v_mul_f64_e32 v[35:36], s[44:45], v[10:11]
	v_fma_f64 v[37:38], v[8:9], s[12:13], v[33:34]
	v_fma_f64 v[33:34], v[8:9], s[16:17], v[33:34]
	s_delay_alu instid0(VALU_DEP_3) | instskip(SKIP_1) | instid1(VALU_DEP_3)
	v_fma_f64 v[39:40], v[4:5], s[42:43], v[35:36]
	v_fma_f64 v[35:36], v[4:5], s[42:43], -v[35:36]
	v_add_f64_e32 v[33:34], v[33:34], v[41:42]
	v_mul_f64_e32 v[41:42], s[42:43], v[6:7]
	v_add_f64_e32 v[37:38], v[37:38], v[43:44]
	v_add_f64_e32 v[39:40], v[39:40], v[47:48]
	v_add_f64_e32 v[35:36], v[35:36], v[45:46]
	v_mul_f64_e32 v[45:46], s[22:23], v[10:11]
	v_fma_f64 v[43:44], v[8:9], s[46:47], v[41:42]
	v_fma_f64 v[41:42], v[8:9], s[44:45], v[41:42]
	s_delay_alu instid0(VALU_DEP_3) | instskip(SKIP_1) | instid1(VALU_DEP_3)
	v_fma_f64 v[47:48], v[4:5], s[18:19], v[45:46]
	v_fma_f64 v[45:46], v[4:5], s[18:19], -v[45:46]
	;; [unrolled: 11-line block ×3, first 2 shown]
	v_add_f64_e32 v[49:50], v[49:50], v[57:58]
	v_mul_f64_e32 v[57:58], s[40:41], v[6:7]
	v_add_f64_e32 v[51:52], v[51:52], v[59:60]
	v_add_f64_e32 v[55:56], v[55:56], v[63:64]
	;; [unrolled: 1-line block ×3, first 2 shown]
	v_mul_f64_e32 v[61:62], s[28:29], v[10:11]
	v_fma_f64 v[59:60], v[8:9], s[48:49], v[57:58]
	v_fma_f64 v[57:58], v[8:9], s[38:39], v[57:58]
	v_mul_f64_e32 v[10:11], s[34:35], v[10:11]
	s_delay_alu instid0(VALU_DEP_4) | instskip(SKIP_1) | instid1(VALU_DEP_4)
	v_fma_f64 v[63:64], v[4:5], s[26:27], v[61:62]
	v_fma_f64 v[61:62], v[4:5], s[26:27], -v[61:62]
	v_add_f64_e32 v[57:58], v[57:58], v[68:69]
	v_mul_f64_e32 v[68:69], s[26:27], v[6:7]
	v_mul_f64_e32 v[6:7], s[30:31], v[6:7]
	v_add_f64_e32 v[59:60], v[59:60], v[70:71]
	v_add_f64_e32 v[63:64], v[63:64], v[74:75]
	;; [unrolled: 1-line block ×3, first 2 shown]
	v_fma_f64 v[72:73], v[4:5], s[30:31], v[10:11]
	v_fma_f64 v[4:5], v[4:5], s[30:31], -v[10:11]
	v_fma_f64 v[70:71], v[8:9], s[24:25], v[68:69]
	v_fma_f64 v[68:69], v[8:9], s[28:29], v[68:69]
	v_add_f64_e64 v[10:11], v[238:239], -v[242:243]
	v_fma_f64 v[74:75], v[8:9], s[36:37], v[6:7]
	v_add_f64_e32 v[72:73], v[72:73], v[172:173]
	v_add_f64_e32 v[0:1], v[4:5], v[0:1]
	v_fma_f64 v[4:5], v[8:9], s[34:35], v[6:7]
	v_add_f64_e32 v[68:69], v[68:69], v[76:77]
	v_mul_f64_e32 v[76:77], s[12:13], v[10:11]
	v_add_f64_e32 v[70:71], v[70:71], v[78:79]
	v_add_f64_e32 v[6:7], v[238:239], v[242:243]
	v_add_f64_e64 v[8:9], v[236:237], -v[240:241]
	v_add_f64_e32 v[74:75], v[74:75], v[174:175]
	v_add_f64_e32 v[174:175], v[222:223], v[226:227]
	;; [unrolled: 1-line block ×4, first 2 shown]
	s_delay_alu instid0(VALU_DEP_1) | instskip(SKIP_1) | instid1(VALU_DEP_2)
	v_fma_f64 v[78:79], v[4:5], s[14:15], v[76:77]
	v_fma_f64 v[76:77], v[4:5], s[14:15], -v[76:77]
	v_add_f64_e32 v[14:15], v[78:79], v[14:15]
	v_mul_f64_e32 v[78:79], s[14:15], v[6:7]
	s_delay_alu instid0(VALU_DEP_3) | instskip(NEXT) | instid1(VALU_DEP_2)
	v_add_f64_e32 v[12:13], v[76:77], v[12:13]
	v_fma_f64 v[76:77], v[8:9], s[12:13], v[78:79]
	v_fma_f64 v[172:173], v[8:9], s[16:17], v[78:79]
	s_delay_alu instid0(VALU_DEP_2) | instskip(SKIP_1) | instid1(VALU_DEP_3)
	v_add_f64_e32 v[16:17], v[76:77], v[16:17]
	v_mul_f64_e32 v[76:77], s[48:49], v[10:11]
	v_add_f64_e32 v[21:22], v[172:173], v[21:22]
	s_delay_alu instid0(VALU_DEP_2) | instskip(SKIP_1) | instid1(VALU_DEP_2)
	v_fma_f64 v[78:79], v[4:5], s[40:41], v[76:77]
	v_fma_f64 v[76:77], v[4:5], s[40:41], -v[76:77]
	v_add_f64_e32 v[23:24], v[78:79], v[23:24]
	v_mul_f64_e32 v[78:79], s[40:41], v[6:7]
	s_delay_alu instid0(VALU_DEP_3) | instskip(NEXT) | instid1(VALU_DEP_2)
	v_add_f64_e32 v[18:19], v[76:77], v[18:19]
	v_fma_f64 v[76:77], v[8:9], s[48:49], v[78:79]
	v_fma_f64 v[172:173], v[8:9], s[38:39], v[78:79]
	s_delay_alu instid0(VALU_DEP_2) | instskip(SKIP_1) | instid1(VALU_DEP_3)
	v_add_f64_e32 v[25:26], v[76:77], v[25:26]
	v_mul_f64_e32 v[76:77], s[34:35], v[10:11]
	v_add_f64_e32 v[27:28], v[172:173], v[27:28]
	s_delay_alu instid0(VALU_DEP_2) | instskip(SKIP_1) | instid1(VALU_DEP_2)
	;; [unrolled: 13-line block ×5, first 2 shown]
	v_fma_f64 v[78:79], v[4:5], s[8:9], v[76:77]
	v_fma_f64 v[76:77], v[4:5], s[8:9], -v[76:77]
	v_add_f64_e32 v[55:56], v[78:79], v[55:56]
	v_mul_f64_e32 v[78:79], s[8:9], v[6:7]
	s_delay_alu instid0(VALU_DEP_3) | instskip(NEXT) | instid1(VALU_DEP_2)
	v_add_f64_e32 v[53:54], v[76:77], v[53:54]
	v_fma_f64 v[76:77], v[8:9], s[0:1], v[78:79]
	v_fma_f64 v[172:173], v[8:9], s[10:11], v[78:79]
	s_delay_alu instid0(VALU_DEP_2) | instskip(SKIP_2) | instid1(VALU_DEP_4)
	v_add_f64_e32 v[57:58], v[76:77], v[57:58]
	v_mul_f64_e32 v[76:77], s[46:47], v[10:11]
	v_mul_f64_e32 v[10:11], s[24:25], v[10:11]
	v_add_f64_e32 v[59:60], v[172:173], v[59:60]
	s_delay_alu instid0(VALU_DEP_3) | instskip(SKIP_1) | instid1(VALU_DEP_2)
	v_fma_f64 v[78:79], v[4:5], s[42:43], v[76:77]
	v_fma_f64 v[76:77], v[4:5], s[42:43], -v[76:77]
	v_add_f64_e32 v[63:64], v[78:79], v[63:64]
	v_mul_f64_e32 v[78:79], s[42:43], v[6:7]
	s_delay_alu instid0(VALU_DEP_3) | instskip(SKIP_1) | instid1(VALU_DEP_3)
	v_add_f64_e32 v[61:62], v[76:77], v[61:62]
	v_mul_f64_e32 v[6:7], s[26:27], v[6:7]
	v_fma_f64 v[76:77], v[8:9], s[46:47], v[78:79]
	v_fma_f64 v[172:173], v[8:9], s[44:45], v[78:79]
	s_delay_alu instid0(VALU_DEP_2) | instskip(SKIP_4) | instid1(VALU_DEP_4)
	v_add_f64_e32 v[68:69], v[76:77], v[68:69]
	v_fma_f64 v[76:77], v[4:5], s[26:27], v[10:11]
	v_fma_f64 v[4:5], v[4:5], s[26:27], -v[10:11]
	v_add_f64_e64 v[10:11], v[230:231], -v[234:235]
	v_add_f64_e32 v[70:71], v[172:173], v[70:71]
	v_add_f64_e32 v[72:73], v[76:77], v[72:73]
	v_fma_f64 v[76:77], v[8:9], s[28:29], v[6:7]
	v_add_f64_e32 v[0:1], v[4:5], v[0:1]
	v_fma_f64 v[4:5], v[8:9], s[24:25], v[6:7]
	v_add_f64_e32 v[6:7], v[230:231], v[234:235]
	v_add_f64_e64 v[8:9], v[228:229], -v[232:233]
	v_add_f64_e32 v[74:75], v[76:77], v[74:75]
	v_mul_f64_e32 v[76:77], s[24:25], v[10:11]
	v_add_f64_e32 v[2:3], v[4:5], v[2:3]
	v_add_f64_e32 v[4:5], v[228:229], v[232:233]
	s_delay_alu instid0(VALU_DEP_1) | instskip(SKIP_1) | instid1(VALU_DEP_2)
	v_fma_f64 v[78:79], v[4:5], s[26:27], v[76:77]
	v_fma_f64 v[76:77], v[4:5], s[26:27], -v[76:77]
	v_add_f64_e32 v[14:15], v[78:79], v[14:15]
	v_mul_f64_e32 v[78:79], s[26:27], v[6:7]
	s_delay_alu instid0(VALU_DEP_3) | instskip(NEXT) | instid1(VALU_DEP_2)
	v_add_f64_e32 v[12:13], v[76:77], v[12:13]
	v_fma_f64 v[76:77], v[8:9], s[24:25], v[78:79]
	v_fma_f64 v[172:173], v[8:9], s[28:29], v[78:79]
	s_delay_alu instid0(VALU_DEP_2) | instskip(SKIP_1) | instid1(VALU_DEP_3)
	v_add_f64_e32 v[16:17], v[76:77], v[16:17]
	v_mul_f64_e32 v[76:77], s[16:17], v[10:11]
	v_add_f64_e32 v[21:22], v[172:173], v[21:22]
	s_delay_alu instid0(VALU_DEP_2) | instskip(SKIP_1) | instid1(VALU_DEP_2)
	v_fma_f64 v[78:79], v[4:5], s[14:15], v[76:77]
	v_fma_f64 v[76:77], v[4:5], s[14:15], -v[76:77]
	v_add_f64_e32 v[23:24], v[78:79], v[23:24]
	v_mul_f64_e32 v[78:79], s[14:15], v[6:7]
	s_delay_alu instid0(VALU_DEP_3) | instskip(NEXT) | instid1(VALU_DEP_2)
	v_add_f64_e32 v[18:19], v[76:77], v[18:19]
	v_fma_f64 v[76:77], v[8:9], s[16:17], v[78:79]
	v_fma_f64 v[172:173], v[8:9], s[12:13], v[78:79]
	s_delay_alu instid0(VALU_DEP_2) | instskip(SKIP_1) | instid1(VALU_DEP_3)
	v_add_f64_e32 v[25:26], v[76:77], v[25:26]
	v_mul_f64_e32 v[76:77], s[46:47], v[10:11]
	v_add_f64_e32 v[27:28], v[172:173], v[27:28]
	s_delay_alu instid0(VALU_DEP_2) | instskip(SKIP_1) | instid1(VALU_DEP_2)
	;; [unrolled: 13-line block ×5, first 2 shown]
	v_fma_f64 v[78:79], v[4:5], s[30:31], v[76:77]
	v_fma_f64 v[76:77], v[4:5], s[30:31], -v[76:77]
	v_add_f64_e32 v[55:56], v[78:79], v[55:56]
	v_mul_f64_e32 v[78:79], s[30:31], v[6:7]
	s_delay_alu instid0(VALU_DEP_3) | instskip(NEXT) | instid1(VALU_DEP_2)
	v_add_f64_e32 v[53:54], v[76:77], v[53:54]
	v_fma_f64 v[76:77], v[8:9], s[36:37], v[78:79]
	v_fma_f64 v[172:173], v[8:9], s[34:35], v[78:79]
	s_delay_alu instid0(VALU_DEP_2) | instskip(SKIP_2) | instid1(VALU_DEP_4)
	v_add_f64_e32 v[57:58], v[76:77], v[57:58]
	v_mul_f64_e32 v[76:77], s[50:51], v[10:11]
	v_mul_f64_e32 v[10:11], s[20:21], v[10:11]
	v_add_f64_e32 v[59:60], v[172:173], v[59:60]
	s_delay_alu instid0(VALU_DEP_3) | instskip(SKIP_1) | instid1(VALU_DEP_2)
	v_fma_f64 v[78:79], v[4:5], s[52:53], v[76:77]
	v_fma_f64 v[76:77], v[4:5], s[52:53], -v[76:77]
	v_add_f64_e32 v[63:64], v[78:79], v[63:64]
	v_mul_f64_e32 v[78:79], s[52:53], v[6:7]
	s_delay_alu instid0(VALU_DEP_3) | instskip(SKIP_1) | instid1(VALU_DEP_3)
	v_add_f64_e32 v[61:62], v[76:77], v[61:62]
	v_mul_f64_e32 v[6:7], s[18:19], v[6:7]
	v_fma_f64 v[76:77], v[8:9], s[50:51], v[78:79]
	v_fma_f64 v[172:173], v[8:9], s[54:55], v[78:79]
	s_delay_alu instid0(VALU_DEP_2) | instskip(SKIP_2) | instid1(VALU_DEP_4)
	v_add_f64_e32 v[68:69], v[76:77], v[68:69]
	v_fma_f64 v[76:77], v[4:5], s[18:19], v[10:11]
	v_fma_f64 v[4:5], v[4:5], s[18:19], -v[10:11]
	v_add_f64_e32 v[70:71], v[172:173], v[70:71]
	v_add_f64_e32 v[172:173], v[220:221], v[224:225]
	s_delay_alu instid0(VALU_DEP_4) | instskip(SKIP_1) | instid1(VALU_DEP_1)
	v_add_f64_e32 v[72:73], v[76:77], v[72:73]
	v_fma_f64 v[76:77], v[8:9], s[22:23], v[6:7]
	v_add_f64_e32 v[74:75], v[76:77], v[74:75]
	v_add_f64_e32 v[76:77], v[4:5], v[0:1]
	v_fma_f64 v[0:1], v[8:9], s[20:21], v[6:7]
	v_add_f64_e64 v[6:7], v[222:223], -v[226:227]
	v_mul_f64_e32 v[8:9], s[40:41], v[174:175]
	s_delay_alu instid0(VALU_DEP_3) | instskip(NEXT) | instid1(VALU_DEP_3)
	v_add_f64_e32 v[78:79], v[0:1], v[2:3]
	v_mul_f64_e32 v[2:3], s[38:39], v[6:7]
	s_delay_alu instid0(VALU_DEP_3) | instskip(NEXT) | instid1(VALU_DEP_2)
	v_fma_f64 v[4:5], v[208:209], s[48:49], v[8:9]
	v_fma_f64 v[0:1], v[172:173], s[40:41], v[2:3]
	v_fma_f64 v[2:3], v[172:173], s[40:41], -v[2:3]
	s_delay_alu instid0(VALU_DEP_3) | instskip(NEXT) | instid1(VALU_DEP_3)
	v_add_f64_e32 v[254:255], v[4:5], v[21:22]
	v_add_f64_e32 v[0:1], v[0:1], v[14:15]
	s_delay_alu instid0(VALU_DEP_3) | instskip(SKIP_2) | instid1(VALU_DEP_2)
	v_add_f64_e32 v[4:5], v[2:3], v[12:13]
	v_fma_f64 v[2:3], v[208:209], s[38:39], v[8:9]
	v_mul_f64_e32 v[8:9], s[20:21], v[6:7]
	v_add_f64_e32 v[2:3], v[2:3], v[16:17]
	s_delay_alu instid0(VALU_DEP_2) | instskip(SKIP_1) | instid1(VALU_DEP_2)
	v_fma_f64 v[10:11], v[172:173], s[18:19], v[8:9]
	v_fma_f64 v[8:9], v[172:173], s[18:19], -v[8:9]
	v_add_f64_e32 v[224:225], v[10:11], v[23:24]
	v_mul_f64_e32 v[10:11], s[18:19], v[174:175]
	s_delay_alu instid0(VALU_DEP_3) | instskip(SKIP_1) | instid1(VALU_DEP_3)
	v_add_f64_e32 v[220:221], v[8:9], v[18:19]
	v_mul_f64_e32 v[23:24], s[30:31], v[174:175]
	v_fma_f64 v[8:9], v[208:209], s[20:21], v[10:11]
	v_fma_f64 v[12:13], v[208:209], s[22:23], v[10:11]
	s_delay_alu instid0(VALU_DEP_2) | instskip(SKIP_1) | instid1(VALU_DEP_3)
	v_add_f64_e32 v[222:223], v[8:9], v[25:26]
	v_mul_f64_e32 v[8:9], s[10:11], v[6:7]
	v_add_f64_e32 v[226:227], v[12:13], v[27:28]
	v_mul_f64_e32 v[25:26], s[14:15], v[174:175]
	s_delay_alu instid0(VALU_DEP_3) | instskip(SKIP_1) | instid1(VALU_DEP_3)
	v_fma_f64 v[10:11], v[172:173], s[8:9], v[8:9]
	v_fma_f64 v[8:9], v[172:173], s[8:9], -v[8:9]
	v_fma_f64 v[27:28], v[208:209], s[16:17], v[25:26]
	s_delay_alu instid0(VALU_DEP_3) | instskip(SKIP_1) | instid1(VALU_DEP_4)
	v_add_f64_e32 v[232:233], v[10:11], v[31:32]
	v_mul_f64_e32 v[10:11], s[8:9], v[174:175]
	v_add_f64_e32 v[228:229], v[8:9], v[29:30]
	v_add_f64_e64 v[29:30], v[214:215], -v[218:219]
	s_delay_alu instid0(VALU_DEP_3) | instskip(SKIP_1) | instid1(VALU_DEP_3)
	v_fma_f64 v[8:9], v[208:209], s[10:11], v[10:11]
	v_fma_f64 v[12:13], v[208:209], s[0:1], v[10:11]
	v_mul_f64_e32 v[31:32], s[50:51], v[29:30]
	s_delay_alu instid0(VALU_DEP_3) | instskip(SKIP_1) | instid1(VALU_DEP_4)
	v_add_f64_e32 v[230:231], v[8:9], v[33:34]
	v_mul_f64_e32 v[8:9], s[28:29], v[6:7]
	v_add_f64_e32 v[234:235], v[12:13], v[37:38]
	s_delay_alu instid0(VALU_DEP_2) | instskip(SKIP_1) | instid1(VALU_DEP_2)
	v_fma_f64 v[10:11], v[172:173], s[26:27], v[8:9]
	v_fma_f64 v[8:9], v[172:173], s[26:27], -v[8:9]
	v_add_f64_e32 v[240:241], v[10:11], v[39:40]
	v_mul_f64_e32 v[10:11], s[26:27], v[174:175]
	s_delay_alu instid0(VALU_DEP_3) | instskip(SKIP_2) | instid1(VALU_DEP_4)
	v_add_f64_e32 v[236:237], v[8:9], v[35:36]
	v_add_f64_e32 v[39:40], v[27:28], v[74:75]
	;; [unrolled: 1-line block ×3, first 2 shown]
	v_fma_f64 v[8:9], v[208:209], s[28:29], v[10:11]
	v_fma_f64 v[12:13], v[208:209], s[24:25], v[10:11]
	s_delay_alu instid0(VALU_DEP_2) | instskip(SKIP_1) | instid1(VALU_DEP_3)
	v_add_f64_e32 v[238:239], v[8:9], v[41:42]
	v_mul_f64_e32 v[8:9], s[46:47], v[6:7]
	v_add_f64_e32 v[242:243], v[12:13], v[43:44]
	s_delay_alu instid0(VALU_DEP_2) | instskip(SKIP_1) | instid1(VALU_DEP_2)
	v_fma_f64 v[10:11], v[172:173], s[42:43], v[8:9]
	v_fma_f64 v[8:9], v[172:173], s[42:43], -v[8:9]
	v_add_f64_e32 v[248:249], v[10:11], v[47:48]
	v_mul_f64_e32 v[10:11], s[42:43], v[174:175]
	s_delay_alu instid0(VALU_DEP_3) | instskip(NEXT) | instid1(VALU_DEP_2)
	v_add_f64_e32 v[244:245], v[8:9], v[45:46]
	v_fma_f64 v[8:9], v[208:209], s[46:47], v[10:11]
	v_fma_f64 v[12:13], v[208:209], s[44:45], v[10:11]
	s_delay_alu instid0(VALU_DEP_2) | instskip(SKIP_1) | instid1(VALU_DEP_3)
	v_add_f64_e32 v[246:247], v[8:9], v[49:50]
	v_mul_f64_e32 v[8:9], s[50:51], v[6:7]
	v_add_f64_e32 v[250:251], v[12:13], v[51:52]
	s_delay_alu instid0(VALU_DEP_2) | instskip(SKIP_1) | instid1(VALU_DEP_2)
	v_fma_f64 v[10:11], v[172:173], s[52:53], v[8:9]
	v_fma_f64 v[8:9], v[172:173], s[52:53], -v[8:9]
	v_add_f64_e32 v[252:253], v[10:11], v[55:56]
	v_mul_f64_e32 v[10:11], s[52:53], v[174:175]
	s_delay_alu instid0(VALU_DEP_3) | instskip(NEXT) | instid1(VALU_DEP_2)
	v_add_f64_e32 v[18:19], v[8:9], v[53:54]
	v_fma_f64 v[8:9], v[208:209], s[50:51], v[10:11]
	v_fma_f64 v[12:13], v[208:209], s[54:55], v[10:11]
	s_delay_alu instid0(VALU_DEP_2) | instskip(SKIP_1) | instid1(VALU_DEP_3)
	v_add_f64_e32 v[16:17], v[8:9], v[57:58]
	v_mul_f64_e32 v[8:9], s[34:35], v[6:7]
	v_add_f64_e32 v[21:22], v[12:13], v[59:60]
	s_delay_alu instid0(VALU_DEP_2) | instskip(SKIP_1) | instid1(VALU_DEP_2)
	v_fma_f64 v[10:11], v[172:173], s[30:31], v[8:9]
	v_fma_f64 v[8:9], v[172:173], s[30:31], -v[8:9]
	v_add_f64_e32 v[14:15], v[10:11], v[63:64]
	v_fma_f64 v[10:11], v[208:209], s[36:37], v[23:24]
	s_delay_alu instid0(VALU_DEP_1) | instskip(NEXT) | instid1(VALU_DEP_4)
	v_add_f64_e32 v[12:13], v[10:11], v[70:71]
	v_add_f64_e32 v[10:11], v[8:9], v[61:62]
	v_fma_f64 v[8:9], v[208:209], s[34:35], v[23:24]
	v_mul_f64_e32 v[23:24], s[12:13], v[6:7]
	s_delay_alu instid0(VALU_DEP_2) | instskip(NEXT) | instid1(VALU_DEP_2)
	v_add_f64_e32 v[8:9], v[8:9], v[68:69]
	v_fma_f64 v[6:7], v[172:173], s[14:15], v[23:24]
	v_fma_f64 v[23:24], v[172:173], s[14:15], -v[23:24]
	s_delay_alu instid0(VALU_DEP_2) | instskip(NEXT) | instid1(VALU_DEP_2)
	v_add_f64_e32 v[6:7], v[6:7], v[72:73]
	v_add_f64_e32 v[37:38], v[23:24], v[76:77]
	v_fma_f64 v[23:24], v[208:209], s[12:13], v[25:26]
	v_add_f64_e32 v[25:26], v[212:213], v[216:217]
	s_delay_alu instid0(VALU_DEP_2) | instskip(NEXT) | instid1(VALU_DEP_2)
	v_add_f64_e32 v[35:36], v[23:24], v[78:79]
	v_fma_f64 v[33:34], v[25:26], s[52:53], v[31:32]
	v_add_f64_e64 v[23:24], v[212:213], -v[216:217]
	v_fma_f64 v[31:32], v[25:26], s[52:53], -v[31:32]
	s_delay_alu instid0(VALU_DEP_3) | instskip(SKIP_1) | instid1(VALU_DEP_3)
	v_add_f64_e32 v[216:217], v[33:34], v[0:1]
	v_mul_f64_e32 v[0:1], s[52:53], v[27:28]
	v_add_f64_e32 v[212:213], v[31:32], v[4:5]
	s_delay_alu instid0(VALU_DEP_2) | instskip(SKIP_1) | instid1(VALU_DEP_2)
	v_fma_f64 v[33:34], v[23:24], s[54:55], v[0:1]
	v_fma_f64 v[0:1], v[23:24], s[50:51], v[0:1]
	v_add_f64_e32 v[218:219], v[33:34], v[254:255]
	s_delay_alu instid0(VALU_DEP_2) | instskip(SKIP_2) | instid1(VALU_DEP_2)
	v_add_f64_e32 v[214:215], v[0:1], v[2:3]
	v_mul_f64_e32 v[0:1], s[44:45], v[29:30]
	v_mul_f64_e32 v[33:34], s[18:19], v[27:28]
	v_fma_f64 v[2:3], v[25:26], s[42:43], v[0:1]
	v_fma_f64 v[0:1], v[25:26], s[42:43], -v[0:1]
	s_delay_alu instid0(VALU_DEP_2) | instskip(SKIP_1) | instid1(VALU_DEP_3)
	v_add_f64_e32 v[224:225], v[2:3], v[224:225]
	v_mul_f64_e32 v[2:3], s[42:43], v[27:28]
	v_add_f64_e32 v[220:221], v[0:1], v[220:221]
	s_delay_alu instid0(VALU_DEP_2) | instskip(SKIP_1) | instid1(VALU_DEP_2)
	v_fma_f64 v[0:1], v[23:24], s[44:45], v[2:3]
	v_fma_f64 v[4:5], v[23:24], s[46:47], v[2:3]
	v_add_f64_e32 v[222:223], v[0:1], v[222:223]
	v_mul_f64_e32 v[0:1], s[38:39], v[29:30]
	s_delay_alu instid0(VALU_DEP_3) | instskip(NEXT) | instid1(VALU_DEP_2)
	v_add_f64_e32 v[226:227], v[4:5], v[226:227]
	v_fma_f64 v[2:3], v[25:26], s[40:41], v[0:1]
	v_fma_f64 v[0:1], v[25:26], s[40:41], -v[0:1]
	s_delay_alu instid0(VALU_DEP_2) | instskip(SKIP_1) | instid1(VALU_DEP_3)
	v_add_f64_e32 v[232:233], v[2:3], v[232:233]
	v_mul_f64_e32 v[2:3], s[40:41], v[27:28]
	v_add_f64_e32 v[228:229], v[0:1], v[228:229]
	s_delay_alu instid0(VALU_DEP_2) | instskip(SKIP_1) | instid1(VALU_DEP_2)
	v_fma_f64 v[0:1], v[23:24], s[38:39], v[2:3]
	v_fma_f64 v[4:5], v[23:24], s[48:49], v[2:3]
	v_add_f64_e32 v[230:231], v[0:1], v[230:231]
	v_mul_f64_e32 v[0:1], s[34:35], v[29:30]
	s_delay_alu instid0(VALU_DEP_3) | instskip(NEXT) | instid1(VALU_DEP_2)
	v_add_f64_e32 v[234:235], v[4:5], v[234:235]
	;; [unrolled: 13-line block ×3, first 2 shown]
	v_fma_f64 v[2:3], v[25:26], s[26:27], v[0:1]
	v_fma_f64 v[0:1], v[25:26], s[26:27], -v[0:1]
	s_delay_alu instid0(VALU_DEP_2) | instskip(SKIP_1) | instid1(VALU_DEP_3)
	v_add_f64_e32 v[248:249], v[2:3], v[248:249]
	v_mul_f64_e32 v[2:3], s[26:27], v[27:28]
	v_add_f64_e32 v[244:245], v[0:1], v[244:245]
	s_delay_alu instid0(VALU_DEP_2) | instskip(SKIP_2) | instid1(VALU_DEP_3)
	v_fma_f64 v[4:5], v[23:24], s[28:29], v[2:3]
	v_fma_f64 v[0:1], v[23:24], s[24:25], v[2:3]
	;; [unrolled: 1-line block ×3, first 2 shown]
	v_add_f64_e32 v[250:251], v[4:5], v[250:251]
	v_mul_f64_e32 v[4:5], s[20:21], v[29:30]
	s_delay_alu instid0(VALU_DEP_4) | instskip(NEXT) | instid1(VALU_DEP_4)
	v_add_f64_e32 v[246:247], v[0:1], v[246:247]
	v_add_f64_e32 v[2:3], v[2:3], v[21:22]
	s_delay_alu instid0(VALU_DEP_3) | instskip(SKIP_1) | instid1(VALU_DEP_2)
	v_fma_f64 v[0:1], v[25:26], s[18:19], v[4:5]
	v_fma_f64 v[4:5], v[25:26], s[18:19], -v[4:5]
	v_add_f64_e32 v[0:1], v[0:1], v[252:253]
	s_delay_alu instid0(VALU_DEP_2) | instskip(SKIP_2) | instid1(VALU_DEP_2)
	v_add_f64_e32 v[31:32], v[4:5], v[18:19]
	v_fma_f64 v[4:5], v[23:24], s[20:21], v[33:34]
	v_mul_f64_e32 v[18:19], s[14:15], v[27:28]
	v_add_f64_e32 v[33:34], v[4:5], v[16:17]
	v_mul_f64_e32 v[4:5], s[12:13], v[29:30]
	s_delay_alu instid0(VALU_DEP_1) | instskip(SKIP_1) | instid1(VALU_DEP_2)
	v_fma_f64 v[16:17], v[25:26], s[14:15], v[4:5]
	v_fma_f64 v[4:5], v[25:26], s[14:15], -v[4:5]
	v_add_f64_e32 v[14:15], v[16:17], v[14:15]
	v_fma_f64 v[16:17], v[23:24], s[16:17], v[18:19]
	s_delay_alu instid0(VALU_DEP_3) | instskip(SKIP_2) | instid1(VALU_DEP_4)
	v_add_f64_e32 v[10:11], v[4:5], v[10:11]
	v_fma_f64 v[4:5], v[23:24], s[12:13], v[18:19]
	v_mul_f64_e32 v[18:19], s[8:9], v[27:28]
	v_add_f64_e32 v[16:17], v[16:17], v[12:13]
	s_delay_alu instid0(VALU_DEP_3) | instskip(SKIP_1) | instid1(VALU_DEP_1)
	v_add_f64_e32 v[12:13], v[4:5], v[8:9]
	v_mul_f64_e32 v[8:9], s[0:1], v[29:30]
	v_fma_f64 v[4:5], v[25:26], s[8:9], v[8:9]
	v_fma_f64 v[8:9], v[25:26], s[8:9], -v[8:9]
	s_delay_alu instid0(VALU_DEP_2) | instskip(SKIP_1) | instid1(VALU_DEP_3)
	v_add_f64_e32 v[4:5], v[4:5], v[6:7]
	v_fma_f64 v[6:7], v[23:24], s[10:11], v[18:19]
	v_add_f64_e32 v[21:22], v[8:9], v[37:38]
	v_fma_f64 v[8:9], v[23:24], s[0:1], v[18:19]
	s_delay_alu instid0(VALU_DEP_3) | instskip(NEXT) | instid1(VALU_DEP_2)
	v_add_f64_e32 v[6:7], v[6:7], v[39:40]
	v_add_f64_e32 v[23:24], v[8:9], v[35:36]
	ds_store_b128 v67, v[168:171]
	ds_store_b128 v67, v[216:219] offset:16
	ds_store_b128 v67, v[224:227] offset:32
	;; [unrolled: 1-line block ×16, first 2 shown]
	global_wb scope:SCOPE_SE
	s_wait_dscnt 0x0
	s_barrier_signal -1
	s_barrier_wait -1
	global_inv scope:SCOPE_SE
	ds_load_b128 v[240:243], v20
	ds_load_b128 v[12:15], v20 offset:9248
	ds_load_b128 v[236:239], v20 offset:1088
	;; [unrolled: 1-line block ×15, first 2 shown]
	s_and_saveexec_b32 s0, vcc_lo
	s_cbranch_execz .LBB0_11
; %bb.10:
	ds_load_b128 v[212:215], v20 offset:8704
	ds_load_b128 v[204:207], v20 offset:17952
.LBB0_11:
	s_wait_alu 0xfffe
	s_or_b32 exec_lo, exec_lo, s0
	scratch_load_b128 v[23:26], off, off offset:336 th:TH_LOAD_LU ; 16-byte Folded Reload
	s_wait_loadcnt_dscnt 0xe
	v_mul_f64_e32 v[21:22], v[25:26], v[14:15]
	s_delay_alu instid0(VALU_DEP_1) | instskip(SKIP_1) | instid1(VALU_DEP_1)
	v_fma_f64 v[21:22], v[23:24], v[12:13], v[21:22]
	v_mul_f64_e32 v[12:13], v[25:26], v[12:13]
	v_fma_f64 v[12:13], v[23:24], v[14:15], -v[12:13]
	scratch_load_b128 v[23:26], off, off offset:320 th:TH_LOAD_LU ; 16-byte Folded Reload
	s_wait_loadcnt_dscnt 0xc
	v_mul_f64_e32 v[14:15], v[25:26], v[18:19]
	s_delay_alu instid0(VALU_DEP_1) | instskip(SKIP_1) | instid1(VALU_DEP_1)
	v_fma_f64 v[14:15], v[23:24], v[16:17], v[14:15]
	v_mul_f64_e32 v[16:17], v[25:26], v[16:17]
	v_fma_f64 v[16:17], v[23:24], v[18:19], -v[16:17]
	s_wait_dscnt 0xa
	v_mul_f64_e32 v[18:19], v[102:103], v[6:7]
	s_delay_alu instid0(VALU_DEP_1) | instskip(SKIP_1) | instid1(VALU_DEP_1)
	v_fma_f64 v[18:19], v[100:101], v[4:5], v[18:19]
	v_mul_f64_e32 v[4:5], v[102:103], v[4:5]
	v_fma_f64 v[23:24], v[100:101], v[6:7], -v[4:5]
	s_wait_dscnt 0x8
	;; [unrolled: 6-line block ×4, first 2 shown]
	v_mul_f64_e32 v[4:5], v[90:91], v[2:3]
	s_delay_alu instid0(VALU_DEP_1) | instskip(SKIP_1) | instid1(VALU_DEP_1)
	v_fma_f64 v[29:30], v[88:89], v[0:1], v[4:5]
	v_mul_f64_e32 v[0:1], v[90:91], v[0:1]
	v_fma_f64 v[31:32], v[88:89], v[2:3], -v[0:1]
	scratch_load_b128 v[2:5], off, off offset:352 th:TH_LOAD_LU ; 16-byte Folded Reload
	s_wait_dscnt 0x2
	v_mul_f64_e32 v[0:1], v[86:87], v[246:247]
	s_delay_alu instid0(VALU_DEP_1) | instskip(SKIP_1) | instid1(VALU_DEP_1)
	v_fma_f64 v[33:34], v[84:85], v[244:245], v[0:1]
	v_mul_f64_e32 v[0:1], v[86:87], v[244:245]
	v_fma_f64 v[35:36], v[84:85], v[246:247], -v[0:1]
	s_wait_loadcnt_dscnt 0x0
	v_mul_f64_e32 v[0:1], v[4:5], v[250:251]
	s_delay_alu instid0(VALU_DEP_1) | instskip(SKIP_1) | instid1(VALU_DEP_1)
	v_fma_f64 v[37:38], v[2:3], v[248:249], v[0:1]
	v_mul_f64_e32 v[0:1], v[4:5], v[248:249]
	v_fma_f64 v[39:40], v[2:3], v[250:251], -v[0:1]
	scratch_load_b128 v[2:5], off, off offset:304 th:TH_LOAD_LU ; 16-byte Folded Reload
	global_wb scope:SCOPE_SE
	s_wait_loadcnt 0x0
	s_barrier_signal -1
	s_barrier_wait -1
	global_inv scope:SCOPE_SE
	v_mul_f64_e32 v[0:1], v[4:5], v[206:207]
	s_delay_alu instid0(VALU_DEP_1) | instskip(SKIP_1) | instid1(VALU_DEP_2)
	v_fma_f64 v[41:42], v[2:3], v[204:205], v[0:1]
	v_mul_f64_e32 v[0:1], v[4:5], v[204:205]
	v_add_f64_e64 v[68:69], v[212:213], -v[41:42]
	s_delay_alu instid0(VALU_DEP_2)
	v_fma_f64 v[43:44], v[2:3], v[206:207], -v[0:1]
	v_add_f64_e64 v[2:3], v[242:243], -v[12:13]
	scratch_load_b32 v12, off, off offset:424 th:TH_LOAD_LU ; 4-byte Folded Reload
	v_add_f64_e64 v[0:1], v[240:241], -v[21:22]
	v_add_f64_e64 v[70:71], v[214:215], -v[43:44]
	v_fma_f64 v[6:7], v[242:243], 2.0, -v[2:3]
	s_delay_alu instid0(VALU_DEP_3)
	v_fma_f64 v[4:5], v[240:241], 2.0, -v[0:1]
	s_wait_loadcnt 0x0
	ds_store_b128 v12, v[0:3] offset:272
	ds_store_b128 v12, v[4:7]
	scratch_load_b32 v12, off, off offset:416 th:TH_LOAD_LU ; 4-byte Folded Reload
	v_add_f64_e64 v[0:1], v[236:237], -v[14:15]
	v_add_f64_e64 v[2:3], v[238:239], -v[16:17]
	;; [unrolled: 1-line block ×3, first 2 shown]
	s_delay_alu instid0(VALU_DEP_3) | instskip(NEXT) | instid1(VALU_DEP_3)
	v_fma_f64 v[4:5], v[236:237], 2.0, -v[0:1]
	v_fma_f64 v[6:7], v[238:239], 2.0, -v[2:3]
	s_delay_alu instid0(VALU_DEP_3)
	v_fma_f64 v[21:22], v[208:209], 2.0, -v[16:17]
	s_wait_loadcnt 0x0
	ds_store_b128 v12, v[4:7]
	ds_store_b128 v12, v[0:3] offset:272
	scratch_load_b32 v12, off, off offset:408 th:TH_LOAD_LU ; 4-byte Folded Reload
	v_add_f64_e64 v[0:1], v[232:233], -v[18:19]
	v_add_f64_e64 v[2:3], v[234:235], -v[23:24]
	;; [unrolled: 1-line block ×3, first 2 shown]
	s_delay_alu instid0(VALU_DEP_3) | instskip(NEXT) | instid1(VALU_DEP_3)
	v_fma_f64 v[4:5], v[232:233], 2.0, -v[0:1]
	v_fma_f64 v[6:7], v[234:235], 2.0, -v[2:3]
	s_delay_alu instid0(VALU_DEP_3)
	v_fma_f64 v[23:24], v[210:211], 2.0, -v[18:19]
	s_wait_loadcnt 0x0
	ds_store_b128 v12, v[4:7]
	ds_store_b128 v12, v[0:3] offset:272
	v_add_f64_e64 v[2:3], v[230:231], -v[8:9]
	scratch_load_b32 v8, off, off offset:400 th:TH_LOAD_LU ; 4-byte Folded Reload
	v_add_f64_e64 v[0:1], v[228:229], -v[25:26]
	v_fma_f64 v[6:7], v[230:231], 2.0, -v[2:3]
	s_delay_alu instid0(VALU_DEP_2)
	v_fma_f64 v[4:5], v[228:229], 2.0, -v[0:1]
	s_wait_loadcnt 0x0
	ds_store_b128 v8, v[4:7]
	ds_store_b128 v8, v[0:3] offset:272
	scratch_load_b32 v8, off, off offset:392 th:TH_LOAD_LU ; 4-byte Folded Reload
	v_add_f64_e64 v[0:1], v[224:225], -v[10:11]
	v_add_f64_e64 v[2:3], v[226:227], -v[27:28]
	;; [unrolled: 1-line block ×3, first 2 shown]
	s_delay_alu instid0(VALU_DEP_3) | instskip(NEXT) | instid1(VALU_DEP_3)
	v_fma_f64 v[4:5], v[224:225], 2.0, -v[0:1]
	v_fma_f64 v[6:7], v[226:227], 2.0, -v[2:3]
	s_delay_alu instid0(VALU_DEP_3)
	v_fma_f64 v[14:15], v[218:219], 2.0, -v[10:11]
	s_wait_loadcnt 0x0
	ds_store_b128 v8, v[4:7]
	ds_store_b128 v8, v[0:3] offset:272
	scratch_load_b32 v25, off, off offset:384 th:TH_LOAD_LU ; 4-byte Folded Reload
	v_add_f64_e64 v[0:1], v[220:221], -v[29:30]
	v_add_f64_e64 v[2:3], v[222:223], -v[31:32]
	;; [unrolled: 1-line block ×3, first 2 shown]
	s_delay_alu instid0(VALU_DEP_3) | instskip(NEXT) | instid1(VALU_DEP_3)
	v_fma_f64 v[4:5], v[220:221], 2.0, -v[0:1]
	v_fma_f64 v[6:7], v[222:223], 2.0, -v[2:3]
	s_delay_alu instid0(VALU_DEP_3)
	v_fma_f64 v[12:13], v[216:217], 2.0, -v[8:9]
	s_wait_loadcnt 0x0
	ds_store_b128 v25, v[4:7]
	ds_store_b128 v25, v[0:3] offset:272
	scratch_load_b32 v0, off, off offset:376 th:TH_LOAD_LU ; 4-byte Folded Reload
	s_wait_loadcnt 0x0
	ds_store_b128 v0, v[12:15]
	ds_store_b128 v0, v[8:11] offset:272
	scratch_load_b32 v0, off, off offset:368 th:TH_LOAD_LU ; 4-byte Folded Reload
	s_wait_loadcnt 0x0
	ds_store_b128 v0, v[21:24]
	ds_store_b128 v0, v[16:19] offset:272
	s_and_saveexec_b32 s0, vcc_lo
	s_cbranch_execz .LBB0_13
; %bb.12:
	s_clause 0x1
	scratch_load_b32 v4, off, off offset:288 th:TH_LOAD_LU
	scratch_load_b32 v5, off, off offset:296 th:TH_LOAD_LU
	v_fma_f64 v[2:3], v[214:215], 2.0, -v[70:71]
	v_fma_f64 v[0:1], v[212:213], 2.0, -v[68:69]
	s_wait_loadcnt 0x0
	v_mad_u16 v4, v4, 34, v5
	s_delay_alu instid0(VALU_DEP_1) | instskip(NEXT) | instid1(VALU_DEP_1)
	v_and_b32_e32 v4, 0xffff, v4
	v_lshl_add_u32 v4, v4, 4, v66
	ds_store_b128 v4, v[0:3]
	ds_store_b128 v4, v[68:71] offset:272
.LBB0_13:
	s_wait_alu 0xfffe
	s_or_b32 exec_lo, exec_lo, s0
	global_wb scope:SCOPE_SE
	s_wait_dscnt 0x0
	s_barrier_signal -1
	s_barrier_wait -1
	global_inv scope:SCOPE_SE
	ds_load_b128 v[0:3], v20 offset:1088
	ds_load_b128 v[6:9], v20 offset:3264
	;; [unrolled: 1-line block ×4, first 2 shown]
	s_mov_b32 s26, 0x5d8e7cdc
	s_mov_b32 s0, 0x2a9d6da3
	;; [unrolled: 1-line block ×16, first 2 shown]
	s_wait_dscnt 0x3
	v_mul_f64_e32 v[4:5], v[126:127], v[2:3]
	s_mov_b32 s12, 0x2b2883cd
	s_mov_b32 s18, 0x3259b75e
	s_wait_dscnt 0x0
	v_mul_f64_e32 v[18:19], v[138:139], v[27:28]
	s_mov_b32 s22, 0xc61f0d01
	s_mov_b32 s28, 0x6ed5f1bb
	;; [unrolled: 1-line block ×13, first 2 shown]
	s_wait_alu 0xfffe
	s_mov_b32 s46, s26
	s_mov_b32 s54, s36
	;; [unrolled: 1-line block ×14, first 2 shown]
	ds_load_b128 v[10:13], v20 offset:4352
	v_fma_f64 v[23:24], v[124:125], v[0:1], v[4:5]
	v_mul_f64_e32 v[0:1], v[126:127], v[0:1]
	v_fma_f64 v[18:19], v[136:137], v[29:30], -v[18:19]
	s_delay_alu instid0(VALU_DEP_2) | instskip(SKIP_3) | instid1(VALU_DEP_1)
	v_fma_f64 v[25:26], v[124:125], v[2:3], -v[0:1]
	ds_load_b128 v[2:5], v20 offset:2176
	s_wait_dscnt 0x0
	v_mul_f64_e32 v[0:1], v[118:119], v[4:5]
	v_fma_f64 v[210:211], v[116:117], v[2:3], v[0:1]
	v_mul_f64_e32 v[2:3], v[118:119], v[2:3]
	s_delay_alu instid0(VALU_DEP_1) | instskip(SKIP_1) | instid1(VALU_DEP_1)
	v_fma_f64 v[208:209], v[116:117], v[4:5], -v[2:3]
	v_mul_f64_e32 v[4:5], v[114:115], v[8:9]
	v_fma_f64 v[4:5], v[112:113], v[6:7], v[4:5]
	v_mul_f64_e32 v[6:7], v[114:115], v[6:7]
	s_delay_alu instid0(VALU_DEP_1) | instskip(SKIP_1) | instid1(VALU_DEP_1)
	v_fma_f64 v[6:7], v[112:113], v[8:9], -v[6:7]
	;; [unrolled: 5-line block ×4, first 2 shown]
	v_mul_f64_e32 v[16:17], v[138:139], v[29:30]
	v_fma_f64 v[16:17], v[136:137], v[27:28], v[16:17]
	ds_load_b128 v[27:30], v20 offset:7616
	s_wait_dscnt 0x0
	v_mul_f64_e32 v[21:22], v[130:131], v[29:30]
	s_delay_alu instid0(VALU_DEP_1) | instskip(SKIP_1) | instid1(VALU_DEP_1)
	v_fma_f64 v[21:22], v[128:129], v[27:28], v[21:22]
	v_mul_f64_e32 v[27:28], v[130:131], v[27:28]
	v_fma_f64 v[100:101], v[128:129], v[29:30], -v[27:28]
	ds_load_b128 v[27:30], v20 offset:8704
	s_wait_dscnt 0x0
	v_mul_f64_e32 v[31:32], v[82:83], v[29:30]
	s_delay_alu instid0(VALU_DEP_1) | instskip(SKIP_1) | instid1(VALU_DEP_1)
	v_fma_f64 v[102:103], v[80:81], v[27:28], v[31:32]
	v_mul_f64_e32 v[27:28], v[82:83], v[27:28]
	v_fma_f64 v[104:105], v[80:81], v[29:30], -v[27:28]
	;; [unrolled: 7-line block ×5, first 2 shown]
	ds_load_b128 v[27:30], v20 offset:13056
	s_wait_dscnt 0x0
	v_mul_f64_e32 v[31:32], v[134:135], v[29:30]
	s_delay_alu instid0(VALU_DEP_1) | instskip(SKIP_1) | instid1(VALU_DEP_2)
	v_fma_f64 v[2:3], v[132:133], v[27:28], v[31:32]
	v_mul_f64_e32 v[27:28], v[134:135], v[27:28]
	v_add_f64_e32 v[250:251], v[12:13], v[2:3]
	s_delay_alu instid0(VALU_DEP_2) | instskip(SKIP_4) | instid1(VALU_DEP_1)
	v_fma_f64 v[124:125], v[132:133], v[29:30], -v[27:28]
	ds_load_b128 v[27:30], v20 offset:14144
	v_add_f64_e64 v[254:255], v[12:13], -v[2:3]
	s_wait_dscnt 0x0
	v_mul_f64_e32 v[31:32], v[166:167], v[29:30]
	v_fma_f64 v[126:127], v[164:165], v[27:28], v[31:32]
	v_mul_f64_e32 v[27:28], v[166:167], v[27:28]
	s_delay_alu instid0(VALU_DEP_2) | instskip(NEXT) | instid1(VALU_DEP_2)
	v_add_f64_e32 v[238:239], v[8:9], v[126:127]
	v_fma_f64 v[128:129], v[164:165], v[29:30], -v[27:28]
	ds_load_b128 v[27:30], v20 offset:15232
	v_add_f64_e64 v[242:243], v[8:9], -v[126:127]
	s_wait_dscnt 0x0
	v_mul_f64_e32 v[31:32], v[162:163], v[29:30]
	v_add_f64_e64 v[246:247], v[10:11], -v[128:129]
	v_add_f64_e32 v[248:249], v[10:11], v[128:129]
	s_delay_alu instid0(VALU_DEP_3) | instskip(SKIP_1) | instid1(VALU_DEP_4)
	v_fma_f64 v[130:131], v[160:161], v[27:28], v[31:32]
	v_mul_f64_e32 v[27:28], v[162:163], v[27:28]
	v_mul_f64_e32 v[240:241], s[16:17], v[246:247]
	s_delay_alu instid0(VALU_DEP_4) | instskip(NEXT) | instid1(VALU_DEP_4)
	v_mul_f64_e32 v[244:245], s[18:19], v[248:249]
	v_add_f64_e32 v[214:215], v[4:5], v[130:131]
	s_delay_alu instid0(VALU_DEP_4)
	v_fma_f64 v[132:133], v[160:161], v[29:30], -v[27:28]
	ds_load_b128 v[27:30], v20 offset:16320
	v_add_f64_e64 v[218:219], v[4:5], -v[130:131]
	s_wait_dscnt 0x0
	v_mul_f64_e32 v[31:32], v[154:155], v[29:30]
	v_add_f64_e64 v[234:235], v[6:7], -v[132:133]
	v_add_f64_e32 v[236:237], v[6:7], v[132:133]
	s_delay_alu instid0(VALU_DEP_3) | instskip(SKIP_1) | instid1(VALU_DEP_4)
	v_fma_f64 v[134:135], v[152:153], v[27:28], v[31:32]
	v_mul_f64_e32 v[27:28], v[154:155], v[27:28]
	v_mul_f64_e32 v[216:217], s[10:11], v[234:235]
	s_delay_alu instid0(VALU_DEP_4) | instskip(NEXT) | instid1(VALU_DEP_3)
	v_mul_f64_e32 v[220:221], s[12:13], v[236:237]
	v_fma_f64 v[136:137], v[152:153], v[29:30], -v[27:28]
	ds_load_b128 v[27:30], v20 offset:17408
	s_wait_dscnt 0x0
	v_mul_f64_e32 v[31:32], v[110:111], v[27:28]
	v_add_f64_e32 v[204:205], v[208:209], v[136:137]
	s_delay_alu instid0(VALU_DEP_2) | instskip(SKIP_1) | instid1(VALU_DEP_1)
	v_fma_f64 v[138:139], v[108:109], v[29:30], -v[31:32]
	v_mul_f64_e32 v[29:30], v[110:111], v[29:30]
	v_fma_f64 v[108:109], v[108:109], v[27:28], v[29:30]
	s_delay_alu instid0(VALU_DEP_3) | instskip(NEXT) | instid1(VALU_DEP_2)
	v_add_f64_e64 v[27:28], v[25:26], -v[138:139]
	v_add_f64_e32 v[43:44], v[23:24], v[108:109]
	s_delay_alu instid0(VALU_DEP_2)
	v_mul_f64_e32 v[29:30], s[26:27], v[27:28]
	v_mul_f64_e32 v[31:32], s[0:1], v[27:28]
	;; [unrolled: 1-line block ×8, first 2 shown]
	v_add_f64_e64 v[82:83], v[23:24], -v[108:109]
	v_fma_f64 v[45:46], v[43:44], s[14:15], v[29:30]
	v_fma_f64 v[47:48], v[43:44], s[14:15], -v[29:30]
	v_fma_f64 v[49:50], v[43:44], s[8:9], v[31:32]
	v_fma_f64 v[31:32], v[43:44], s[8:9], -v[31:32]
	;; [unrolled: 2-line block ×8, first 2 shown]
	v_add_f64_e32 v[27:28], v[25:26], v[138:139]
	s_delay_alu instid0(VALU_DEP_1)
	v_mul_f64_e32 v[29:30], s[14:15], v[27:28]
	v_mul_f64_e32 v[63:64], s[8:9], v[27:28]
	;; [unrolled: 1-line block ×8, first 2 shown]
	s_wait_alu 0xfffe
	v_fma_f64 v[84:85], v[82:83], s[46:47], v[29:30]
	v_fma_f64 v[86:87], v[82:83], s[26:27], v[29:30]
	v_fma_f64 v[88:89], v[82:83], s[44:45], v[63:64]
	v_fma_f64 v[94:95], v[82:83], s[40:41], v[74:75]
	v_fma_f64 v[142:143], v[82:83], s[48:49], v[76:77]
	v_fma_f64 v[148:149], v[82:83], s[24:25], v[78:79]
	v_fma_f64 v[150:151], v[82:83], s[52:53], v[80:81]
	v_fma_f64 v[154:155], v[82:83], s[54:55], v[27:28]
	v_fma_f64 v[162:163], v[82:83], s[36:37], v[27:28]
	ds_load_b128 v[27:30], v20
	v_fma_f64 v[152:153], v[82:83], s[30:31], v[80:81]
	v_fma_f64 v[63:64], v[82:83], s[0:1], v[63:64]
	;; [unrolled: 1-line block ×7, first 2 shown]
	s_wait_dscnt 0x0
	v_add_f64_e32 v[0:1], v[27:28], v[23:24]
	v_add_f64_e32 v[23:24], v[27:28], v[45:46]
	;; [unrolled: 1-line block ×17, first 2 shown]
	v_add_f64_e64 v[37:38], v[18:19], -v[170:171]
	v_add_f64_e32 v[51:52], v[100:101], v[116:117]
	v_add_f64_e32 v[76:77], v[29:30], v[63:64]
	;; [unrolled: 1-line block ×8, first 2 shown]
	scratch_store_b64 off, v[0:1], off offset:416 ; 8-byte Folded Spill
	v_add_f64_e32 v[0:1], v[27:28], v[47:48]
	v_add_f64_e64 v[47:48], v[100:101], -v[116:117]
	v_mul_f64_e32 v[66:67], s[14:15], v[63:64]
	v_mul_f64_e32 v[168:169], s[12:13], v[63:64]
	scratch_store_b64 off, v[0:1], off offset:288 ; 8-byte Folded Spill
	v_add_f64_e32 v[0:1], v[29:30], v[86:87]
	v_add_f64_e32 v[86:87], v[27:28], v[33:34]
	v_add_f64_e64 v[33:34], v[14:15], -v[124:125]
	scratch_store_b64 off, v[0:1], off offset:296 ; 8-byte Folded Spill
	v_add_f64_e32 v[0:1], v[27:28], v[39:40]
	v_mul_f64_e32 v[252:253], s[20:21], v[33:34]
	v_add_f64_e32 v[39:40], v[18:19], v[170:171]
	scratch_store_b64 off, v[0:1], off offset:408 ; 8-byte Folded Spill
	v_add_f64_e32 v[0:1], v[29:30], v[148:149]
	scratch_store_b64 off, v[0:1], off offset:400 ; 8-byte Folded Spill
	;; [unrolled: 2-line block ×3, first 2 shown]
	v_add_f64_e32 v[0:1], v[29:30], v[150:151]
	v_add_f64_e64 v[150:151], v[210:211], -v[134:135]
	scratch_store_b64 off, v[0:1], off offset:384 ; 8-byte Folded Spill
	v_add_f64_e32 v[0:1], v[27:28], v[41:42]
	scratch_store_b64 off, v[0:1], off offset:376 ; 8-byte Folded Spill
	v_add_f64_e32 v[0:1], v[29:30], v[152:153]
	v_mul_f64_e32 v[152:153], s[8:9], v[204:205]
	scratch_store_b64 off, v[0:1], off offset:368 ; 8-byte Folded Spill
	v_add_f64_e32 v[0:1], v[27:28], v[61:62]
	v_add_f64_e64 v[61:62], v[104:105], -v[112:113]
	scratch_store_b64 off, v[0:1], off offset:352 ; 8-byte Folded Spill
	v_add_f64_e32 v[0:1], v[29:30], v[154:155]
	scratch_store_b64 off, v[0:1], off offset:336 ; 8-byte Folded Spill
	v_add_f64_e32 v[0:1], v[27:28], v[43:44]
	;; [unrolled: 2-line block ×3, first 2 shown]
	v_add_f64_e64 v[162:163], v[208:209], -v[136:137]
	scratch_store_b64 off, v[0:1], off offset:304 ; 8-byte Folded Spill
	v_mul_f64_e32 v[148:149], s[0:1], v[162:163]
	v_mul_f64_e32 v[0:1], s[46:47], v[61:62]
	s_delay_alu instid0(VALU_DEP_2) | instskip(NEXT) | instid1(VALU_DEP_1)
	v_fma_f64 v[27:28], v[142:143], s[8:9], v[148:149]
	v_add_f64_e32 v[23:24], v[27:28], v[23:24]
	v_fma_f64 v[27:28], v[150:151], s[44:45], v[152:153]
	s_delay_alu instid0(VALU_DEP_1) | instskip(SKIP_1) | instid1(VALU_DEP_1)
	v_add_f64_e32 v[25:26], v[27:28], v[25:26]
	v_fma_f64 v[27:28], v[214:215], s[12:13], v[216:217]
	v_add_f64_e32 v[23:24], v[27:28], v[23:24]
	v_fma_f64 v[27:28], v[218:219], s[42:43], v[220:221]
	s_delay_alu instid0(VALU_DEP_1) | instskip(SKIP_1) | instid1(VALU_DEP_1)
	v_add_f64_e32 v[25:26], v[27:28], v[25:26]
	;; [unrolled: 5-line block ×3, first 2 shown]
	v_fma_f64 v[27:28], v[250:251], s[22:23], v[252:253]
	v_add_f64_e32 v[29:30], v[27:28], v[23:24]
	v_mul_f64_e32 v[23:24], s[22:23], v[35:36]
	s_delay_alu instid0(VALU_DEP_1) | instskip(SKIP_1) | instid1(VALU_DEP_2)
	v_fma_f64 v[27:28], v[254:255], s[48:49], v[23:24]
	v_fma_f64 v[23:24], v[254:255], s[20:21], v[23:24]
	v_add_f64_e32 v[41:42], v[27:28], v[25:26]
	v_add_f64_e32 v[25:26], v[16:17], v[118:119]
	v_mul_f64_e32 v[27:28], s[24:25], v[37:38]
	s_delay_alu instid0(VALU_DEP_1) | instskip(NEXT) | instid1(VALU_DEP_1)
	v_fma_f64 v[31:32], v[25:26], s[28:29], v[27:28]
	v_add_f64_e32 v[45:46], v[31:32], v[29:30]
	v_add_f64_e64 v[29:30], v[16:17], -v[118:119]
	v_mul_f64_e32 v[31:32], s[28:29], v[39:40]
	s_delay_alu instid0(VALU_DEP_1) | instskip(NEXT) | instid1(VALU_DEP_1)
	v_fma_f64 v[43:44], v[29:30], s[50:51], v[31:32]
	v_add_f64_e32 v[53:54], v[43:44], v[41:42]
	v_add_f64_e32 v[41:42], v[21:22], v[114:115]
	v_mul_f64_e32 v[43:44], s[30:31], v[47:48]
	s_delay_alu instid0(VALU_DEP_1) | instskip(NEXT) | instid1(VALU_DEP_1)
	v_fma_f64 v[49:50], v[41:42], s[34:35], v[43:44]
	v_add_f64_e32 v[57:58], v[49:50], v[45:46]
	v_add_f64_e64 v[45:46], v[21:22], -v[114:115]
	v_mul_f64_e32 v[49:50], s[34:35], v[51:52]
	s_delay_alu instid0(VALU_DEP_1) | instskip(NEXT) | instid1(VALU_DEP_1)
	;; [unrolled: 10-line block ×3, first 2 shown]
	v_fma_f64 v[172:173], v[57:58], s[54:55], v[59:60]
	v_add_f64_e32 v[74:75], v[172:173], v[74:75]
	v_mul_f64_e32 v[172:173], s[16:17], v[162:163]
	s_delay_alu instid0(VALU_DEP_1) | instskip(SKIP_1) | instid1(VALU_DEP_2)
	v_fma_f64 v[174:175], v[142:143], s[18:19], v[172:173]
	v_fma_f64 v[172:173], v[142:143], s[18:19], -v[172:173]
	v_add_f64_e32 v[82:83], v[174:175], v[82:83]
	v_mul_f64_e32 v[174:175], s[18:19], v[204:205]
	s_delay_alu instid0(VALU_DEP_3) | instskip(NEXT) | instid1(VALU_DEP_2)
	v_add_f64_e32 v[78:79], v[172:173], v[78:79]
	v_fma_f64 v[110:111], v[150:151], s[40:41], v[174:175]
	v_fma_f64 v[172:173], v[150:151], s[16:17], v[174:175]
	v_mul_f64_e32 v[174:175], s[30:31], v[61:62]
	s_delay_alu instid0(VALU_DEP_3) | instskip(SKIP_1) | instid1(VALU_DEP_4)
	v_add_f64_e32 v[80:81], v[110:111], v[80:81]
	v_mul_f64_e32 v[110:111], s[24:25], v[234:235]
	v_add_f64_e32 v[76:77], v[172:173], v[76:77]
	v_mul_f64_e32 v[172:173], s[18:19], v[51:52]
	s_delay_alu instid0(VALU_DEP_3) | instskip(SKIP_1) | instid1(VALU_DEP_2)
	v_fma_f64 v[140:141], v[214:215], s[28:29], v[110:111]
	v_fma_f64 v[110:111], v[214:215], s[28:29], -v[110:111]
	v_add_f64_e32 v[82:83], v[140:141], v[82:83]
	v_mul_f64_e32 v[140:141], s[28:29], v[236:237]
	s_delay_alu instid0(VALU_DEP_3) | instskip(NEXT) | instid1(VALU_DEP_2)
	v_add_f64_e32 v[78:79], v[110:111], v[78:79]
	v_fma_f64 v[144:145], v[218:219], s[50:51], v[140:141]
	v_fma_f64 v[110:111], v[218:219], s[24:25], v[140:141]
	v_mul_f64_e32 v[140:141], s[54:55], v[234:235]
	s_delay_alu instid0(VALU_DEP_3) | instskip(SKIP_1) | instid1(VALU_DEP_4)
	v_add_f64_e32 v[80:81], v[144:145], v[80:81]
	v_mul_f64_e32 v[144:145], s[36:37], v[246:247]
	v_add_f64_e32 v[76:77], v[110:111], v[76:77]
	s_delay_alu instid0(VALU_DEP_2) | instskip(SKIP_2) | instid1(VALU_DEP_3)
	v_fma_f64 v[146:147], v[238:239], s[38:39], v[144:145]
	v_fma_f64 v[110:111], v[238:239], s[38:39], -v[144:145]
	v_mul_f64_e32 v[144:145], s[38:39], v[236:237]
	v_add_f64_e32 v[82:83], v[146:147], v[82:83]
	v_mul_f64_e32 v[146:147], s[38:39], v[248:249]
	s_delay_alu instid0(VALU_DEP_4) | instskip(NEXT) | instid1(VALU_DEP_2)
	v_add_f64_e32 v[78:79], v[110:111], v[78:79]
	v_fma_f64 v[154:155], v[242:243], s[54:55], v[146:147]
	v_fma_f64 v[110:111], v[242:243], s[36:37], v[146:147]
	v_mul_f64_e32 v[146:147], s[48:49], v[246:247]
	s_delay_alu instid0(VALU_DEP_3) | instskip(SKIP_1) | instid1(VALU_DEP_4)
	v_add_f64_e32 v[80:81], v[154:155], v[80:81]
	v_mul_f64_e32 v[154:155], s[52:53], v[33:34]
	v_add_f64_e32 v[76:77], v[110:111], v[76:77]
	s_delay_alu instid0(VALU_DEP_2) | instskip(SKIP_2) | instid1(VALU_DEP_3)
	v_fma_f64 v[156:157], v[250:251], s[34:35], v[154:155]
	v_fma_f64 v[110:111], v[250:251], s[34:35], -v[154:155]
	v_mul_f64_e32 v[154:155], s[22:23], v[248:249]
	v_add_f64_e32 v[82:83], v[156:157], v[82:83]
	v_mul_f64_e32 v[156:157], s[34:35], v[35:36]
	s_delay_alu instid0(VALU_DEP_4) | instskip(NEXT) | instid1(VALU_DEP_2)
	;; [unrolled: 15-line block ×4, first 2 shown]
	v_add_f64_e32 v[78:79], v[110:111], v[78:79]
	v_fma_f64 v[206:207], v[45:46], s[10:11], v[166:167]
	v_fma_f64 v[110:111], v[45:46], s[42:43], v[166:167]
	v_mul_f64_e32 v[166:167], s[16:17], v[47:48]
	s_delay_alu instid0(VALU_DEP_3) | instskip(SKIP_3) | instid1(VALU_DEP_3)
	v_add_f64_e32 v[206:207], v[206:207], v[80:81]
	v_fma_f64 v[80:81], v[53:54], s[14:15], v[0:1]
	v_fma_f64 v[0:1], v[53:54], s[14:15], -v[0:1]
	v_add_f64_e32 v[110:111], v[110:111], v[76:77]
	v_add_f64_e32 v[80:81], v[80:81], v[82:83]
	v_fma_f64 v[82:83], v[57:58], s[26:27], v[66:67]
	v_fma_f64 v[66:67], v[57:58], s[46:47], v[66:67]
	v_add_f64_e32 v[76:77], v[0:1], v[78:79]
	v_mul_f64_e32 v[0:1], s[24:25], v[162:163]
	s_delay_alu instid0(VALU_DEP_4) | instskip(NEXT) | instid1(VALU_DEP_4)
	v_add_f64_e32 v[82:83], v[82:83], v[206:207]
	v_add_f64_e32 v[78:79], v[66:67], v[110:111]
	v_mul_f64_e32 v[110:111], s[28:29], v[204:205]
	s_delay_alu instid0(VALU_DEP_4) | instskip(SKIP_1) | instid1(VALU_DEP_2)
	v_fma_f64 v[66:67], v[142:143], s[28:29], v[0:1]
	v_fma_f64 v[0:1], v[142:143], s[28:29], -v[0:1]
	v_add_f64_e32 v[66:67], v[66:67], v[90:91]
	s_delay_alu instid0(VALU_DEP_4) | instskip(NEXT) | instid1(VALU_DEP_3)
	v_fma_f64 v[90:91], v[150:151], s[50:51], v[110:111]
	v_add_f64_e32 v[0:1], v[0:1], v[86:87]
	v_fma_f64 v[86:87], v[150:151], s[24:25], v[110:111]
	v_mul_f64_e32 v[110:111], s[38:39], v[204:205]
	s_delay_alu instid0(VALU_DEP_4) | instskip(SKIP_1) | instid1(VALU_DEP_4)
	v_add_f64_e32 v[88:89], v[90:91], v[88:89]
	v_fma_f64 v[90:91], v[214:215], s[38:39], v[140:141]
	v_add_f64_e32 v[84:85], v[86:87], v[84:85]
	v_fma_f64 v[86:87], v[214:215], s[38:39], -v[140:141]
	v_mul_f64_e32 v[140:141], s[48:49], v[234:235]
	s_delay_alu instid0(VALU_DEP_4) | instskip(SKIP_1) | instid1(VALU_DEP_4)
	v_add_f64_e32 v[66:67], v[90:91], v[66:67]
	v_fma_f64 v[90:91], v[218:219], s[36:37], v[144:145]
	v_add_f64_e32 v[0:1], v[86:87], v[0:1]
	v_fma_f64 v[86:87], v[218:219], s[54:55], v[144:145]
	v_mul_f64_e32 v[144:145], s[22:23], v[236:237]
	s_delay_alu instid0(VALU_DEP_4) | instskip(SKIP_1) | instid1(VALU_DEP_4)
	v_add_f64_e32 v[88:89], v[90:91], v[88:89]
	v_fma_f64 v[90:91], v[238:239], s[22:23], v[146:147]
	v_add_f64_e32 v[84:85], v[86:87], v[84:85]
	v_fma_f64 v[86:87], v[238:239], s[22:23], -v[146:147]
	v_mul_f64_e32 v[146:147], s[46:47], v[246:247]
	s_delay_alu instid0(VALU_DEP_4) | instskip(SKIP_1) | instid1(VALU_DEP_4)
	v_add_f64_e32 v[66:67], v[90:91], v[66:67]
	;; [unrolled: 12-line block ×6, first 2 shown]
	v_mul_f64_e32 v[66:67], s[34:35], v[63:64]
	v_add_f64_e32 v[84:85], v[84:85], v[0:1]
	v_mul_f64_e32 v[0:1], s[36:37], v[162:163]
	s_delay_alu instid0(VALU_DEP_3) | instskip(SKIP_1) | instid1(VALU_DEP_2)
	v_fma_f64 v[206:207], v[57:58], s[52:53], v[66:67]
	v_fma_f64 v[66:67], v[57:58], s[30:31], v[66:67]
	v_add_f64_e32 v[90:91], v[206:207], v[90:91]
	s_delay_alu instid0(VALU_DEP_2) | instskip(SKIP_2) | instid1(VALU_DEP_2)
	v_add_f64_e32 v[86:87], v[66:67], v[86:87]
	v_fma_f64 v[66:67], v[142:143], s[38:39], v[0:1]
	v_fma_f64 v[0:1], v[142:143], s[38:39], -v[0:1]
	v_add_f64_e32 v[66:67], v[66:67], v[98:99]
	v_fma_f64 v[98:99], v[150:151], s[54:55], v[110:111]
	s_delay_alu instid0(VALU_DEP_3) | instskip(SKIP_2) | instid1(VALU_DEP_4)
	v_add_f64_e32 v[0:1], v[0:1], v[94:95]
	v_fma_f64 v[94:95], v[150:151], s[36:37], v[110:111]
	v_mul_f64_e32 v[110:111], s[34:35], v[204:205]
	v_add_f64_e32 v[96:97], v[98:99], v[96:97]
	v_fma_f64 v[98:99], v[214:215], s[22:23], v[140:141]
	s_delay_alu instid0(VALU_DEP_4)
	v_add_f64_e32 v[92:93], v[94:95], v[92:93]
	v_fma_f64 v[94:95], v[214:215], s[22:23], -v[140:141]
	v_fma_f64 v[140:141], v[150:151], s[30:31], v[110:111]
	v_fma_f64 v[110:111], v[150:151], s[52:53], v[110:111]
	v_add_f64_e32 v[66:67], v[98:99], v[66:67]
	v_fma_f64 v[98:99], v[218:219], s[20:21], v[144:145]
	v_add_f64_e32 v[0:1], v[94:95], v[0:1]
	v_fma_f64 v[94:95], v[218:219], s[48:49], v[144:145]
	v_mul_f64_e32 v[144:145], s[44:45], v[234:235]
	v_add_f64_e32 v[140:141], v[140:141], v[230:231]
	v_add_f64_e32 v[110:111], v[110:111], v[226:227]
	v_add_f64_e32 v[96:97], v[98:99], v[96:97]
	v_fma_f64 v[98:99], v[238:239], s[14:15], v[146:147]
	v_add_f64_e32 v[92:93], v[94:95], v[92:93]
	v_fma_f64 v[94:95], v[238:239], s[14:15], -v[146:147]
	v_fma_f64 v[146:147], v[214:215], s[8:9], v[144:145]
	s_delay_alu instid0(VALU_DEP_4) | instskip(SKIP_1) | instid1(VALU_DEP_4)
	v_add_f64_e32 v[66:67], v[98:99], v[66:67]
	v_fma_f64 v[98:99], v[242:243], s[26:27], v[154:155]
	v_add_f64_e32 v[0:1], v[94:95], v[0:1]
	v_fma_f64 v[94:95], v[242:243], s[46:47], v[154:155]
	s_delay_alu instid0(VALU_DEP_3) | instskip(SKIP_1) | instid1(VALU_DEP_3)
	v_add_f64_e32 v[96:97], v[98:99], v[96:97]
	v_fma_f64 v[98:99], v[250:251], s[12:13], v[156:157]
	v_add_f64_e32 v[92:93], v[94:95], v[92:93]
	v_fma_f64 v[94:95], v[250:251], s[12:13], -v[156:157]
	s_delay_alu instid0(VALU_DEP_3) | instskip(SKIP_1) | instid1(VALU_DEP_3)
	v_add_f64_e32 v[66:67], v[98:99], v[66:67]
	v_fma_f64 v[98:99], v[254:255], s[42:43], v[158:159]
	v_add_f64_e32 v[0:1], v[94:95], v[0:1]
	v_fma_f64 v[94:95], v[254:255], s[10:11], v[158:159]
	s_delay_alu instid0(VALU_DEP_3) | instskip(SKIP_1) | instid1(VALU_DEP_3)
	v_add_f64_e32 v[96:97], v[98:99], v[96:97]
	v_fma_f64 v[98:99], v[25:26], s[34:35], v[160:161]
	v_add_f64_e32 v[92:93], v[94:95], v[92:93]
	v_fma_f64 v[94:95], v[25:26], s[34:35], -v[160:161]
	s_delay_alu instid0(VALU_DEP_3) | instskip(SKIP_1) | instid1(VALU_DEP_3)
	;; [unrolled: 10-line block ×4, first 2 shown]
	v_add_f64_e32 v[96:97], v[96:97], v[66:67]
	v_mul_f64_e32 v[66:67], s[8:9], v[63:64]
	v_add_f64_e32 v[92:93], v[92:93], v[0:1]
	v_mul_f64_e32 v[0:1], s[52:53], v[162:163]
	s_delay_alu instid0(VALU_DEP_3) | instskip(SKIP_1) | instid1(VALU_DEP_2)
	v_fma_f64 v[206:207], v[57:58], s[0:1], v[66:67]
	v_fma_f64 v[66:67], v[57:58], s[44:45], v[66:67]
	v_add_f64_e32 v[98:99], v[206:207], v[98:99]
	s_delay_alu instid0(VALU_DEP_2) | instskip(SKIP_2) | instid1(VALU_DEP_2)
	v_add_f64_e32 v[94:95], v[66:67], v[94:95]
	v_fma_f64 v[66:67], v[142:143], s[34:35], v[0:1]
	v_fma_f64 v[0:1], v[142:143], s[34:35], -v[0:1]
	v_add_f64_e32 v[66:67], v[66:67], v[232:233]
	s_delay_alu instid0(VALU_DEP_2) | instskip(NEXT) | instid1(VALU_DEP_2)
	v_add_f64_e32 v[0:1], v[0:1], v[228:229]
	v_add_f64_e32 v[66:67], v[146:147], v[66:67]
	v_mul_f64_e32 v[146:147], s[8:9], v[236:237]
	s_delay_alu instid0(VALU_DEP_1) | instskip(NEXT) | instid1(VALU_DEP_1)
	v_fma_f64 v[154:155], v[218:219], s[0:1], v[146:147]
	v_add_f64_e32 v[140:141], v[154:155], v[140:141]
	v_mul_f64_e32 v[154:155], s[10:11], v[246:247]
	s_delay_alu instid0(VALU_DEP_1) | instskip(NEXT) | instid1(VALU_DEP_1)
	v_fma_f64 v[156:157], v[238:239], s[12:13], v[154:155]
	;; [unrolled: 4-line block ×10, first 2 shown]
	v_add_f64_e32 v[230:231], v[230:231], v[66:67]
	v_mul_f64_e32 v[66:67], s[28:29], v[63:64]
	s_delay_alu instid0(VALU_DEP_1) | instskip(SKIP_1) | instid1(VALU_DEP_2)
	v_fma_f64 v[232:233], v[57:58], s[50:51], v[66:67]
	v_fma_f64 v[66:67], v[57:58], s[24:25], v[66:67]
	v_add_f64_e32 v[232:233], v[232:233], v[140:141]
	v_fma_f64 v[140:141], v[214:215], s[8:9], -v[144:145]
	v_mul_f64_e32 v[144:145], s[26:27], v[234:235]
	s_delay_alu instid0(VALU_DEP_2) | instskip(SKIP_1) | instid1(VALU_DEP_3)
	v_add_f64_e32 v[0:1], v[140:141], v[0:1]
	v_fma_f64 v[140:141], v[218:219], s[44:45], v[146:147]
	v_fma_f64 v[146:147], v[214:215], s[14:15], v[144:145]
	s_delay_alu instid0(VALU_DEP_2) | instskip(SKIP_1) | instid1(VALU_DEP_1)
	v_add_f64_e32 v[110:111], v[140:141], v[110:111]
	v_fma_f64 v[140:141], v[238:239], s[12:13], -v[154:155]
	v_add_f64_e32 v[0:1], v[140:141], v[0:1]
	v_fma_f64 v[140:141], v[242:243], s[10:11], v[156:157]
	s_delay_alu instid0(VALU_DEP_1) | instskip(SKIP_1) | instid1(VALU_DEP_1)
	v_add_f64_e32 v[110:111], v[140:141], v[110:111]
	v_fma_f64 v[140:141], v[250:251], s[38:39], -v[158:159]
	v_add_f64_e32 v[0:1], v[140:141], v[0:1]
	v_fma_f64 v[140:141], v[254:255], s[36:37], v[160:161]
	s_delay_alu instid0(VALU_DEP_1) | instskip(SKIP_1) | instid1(VALU_DEP_1)
	;; [unrolled: 5-line block ×3, first 2 shown]
	v_add_f64_e32 v[110:111], v[140:141], v[110:111]
	v_fma_f64 v[140:141], v[41:42], s[14:15], -v[172:173]
	v_add_f64_e32 v[0:1], v[140:141], v[0:1]
	v_fma_f64 v[140:141], v[45:46], s[26:27], v[174:175]
	s_delay_alu instid0(VALU_DEP_1) | instskip(SKIP_1) | instid1(VALU_DEP_2)
	v_add_f64_e32 v[110:111], v[140:141], v[110:111]
	v_fma_f64 v[140:141], v[53:54], s[28:29], -v[206:207]
	v_add_f64_e32 v[228:229], v[66:67], v[110:111]
	v_mul_f64_e32 v[66:67], s[48:49], v[162:163]
	s_delay_alu instid0(VALU_DEP_3) | instskip(SKIP_1) | instid1(VALU_DEP_3)
	v_add_f64_e32 v[226:227], v[140:141], v[0:1]
	v_mul_f64_e32 v[110:111], s[22:23], v[204:205]
	v_fma_f64 v[0:1], v[142:143], s[22:23], v[66:67]
	s_delay_alu instid0(VALU_DEP_2) | instskip(NEXT) | instid1(VALU_DEP_2)
	v_fma_f64 v[140:141], v[150:151], s[20:21], v[110:111]
	v_add_f64_e32 v[0:1], v[0:1], v[224:225]
	s_delay_alu instid0(VALU_DEP_2) | instskip(NEXT) | instid1(VALU_DEP_2)
	v_add_f64_e32 v[140:141], v[140:141], v[222:223]
	v_add_f64_e32 v[0:1], v[146:147], v[0:1]
	v_mul_f64_e32 v[146:147], s[14:15], v[236:237]
	s_delay_alu instid0(VALU_DEP_1) | instskip(NEXT) | instid1(VALU_DEP_1)
	v_fma_f64 v[154:155], v[218:219], s[46:47], v[146:147]
	v_add_f64_e32 v[140:141], v[154:155], v[140:141]
	v_mul_f64_e32 v[154:155], s[30:31], v[246:247]
	s_delay_alu instid0(VALU_DEP_1) | instskip(NEXT) | instid1(VALU_DEP_1)
	v_fma_f64 v[156:157], v[238:239], s[34:35], v[154:155]
	;; [unrolled: 4-line block ×10, first 2 shown]
	v_add_f64_e32 v[222:223], v[222:223], v[0:1]
	v_fma_f64 v[0:1], v[57:58], s[10:11], v[168:169]
	s_delay_alu instid0(VALU_DEP_1) | instskip(SKIP_4) | instid1(VALU_DEP_1)
	v_add_f64_e32 v[224:225], v[0:1], v[140:141]
	scratch_load_b64 v[0:1], off, off offset:416 th:TH_LOAD_LU ; 8-byte Folded Reload
	v_add_f64_e32 v[140:141], v[212:213], v[208:209]
	s_wait_loadcnt 0x0
	v_add_f64_e32 v[0:1], v[0:1], v[210:211]
	v_add_f64_e32 v[0:1], v[0:1], v[4:5]
	s_delay_alu instid0(VALU_DEP_3)
	v_add_f64_e32 v[4:5], v[140:141], v[6:7]
	scratch_load_b64 v[6:7], off, off offset:408 th:TH_LOAD_LU ; 8-byte Folded Reload
	v_add_f64_e32 v[0:1], v[0:1], v[8:9]
	scratch_load_b64 v[8:9], off, off offset:400 th:TH_LOAD_LU ; 8-byte Folded Reload
	v_add_f64_e32 v[4:5], v[4:5], v[10:11]
	v_fma_f64 v[10:11], v[57:58], s[42:43], v[168:169]
	v_add_f64_e32 v[0:1], v[0:1], v[12:13]
	v_mul_f64_e32 v[12:13], s[42:43], v[162:163]
	s_delay_alu instid0(VALU_DEP_4) | instskip(SKIP_1) | instid1(VALU_DEP_4)
	v_add_f64_e32 v[4:5], v[4:5], v[14:15]
	v_mul_f64_e32 v[14:15], s[12:13], v[204:205]
	v_add_f64_e32 v[0:1], v[0:1], v[16:17]
	scratch_load_b64 v[16:17], off, off offset:384 th:TH_LOAD_LU ; 8-byte Folded Reload
	v_add_f64_e32 v[4:5], v[4:5], v[18:19]
	v_add_f64_e32 v[0:1], v[0:1], v[21:22]
	s_delay_alu instid0(VALU_DEP_2) | instskip(NEXT) | instid1(VALU_DEP_2)
	v_add_f64_e32 v[4:5], v[4:5], v[100:101]
	v_add_f64_e32 v[0:1], v[0:1], v[102:103]
	s_delay_alu instid0(VALU_DEP_2) | instskip(NEXT) | instid1(VALU_DEP_2)
	v_add_f64_e32 v[4:5], v[4:5], v[104:105]
	v_add_f64_e32 v[0:1], v[0:1], v[106:107]
	s_delay_alu instid0(VALU_DEP_2) | instskip(NEXT) | instid1(VALU_DEP_2)
	v_add_f64_e32 v[4:5], v[4:5], v[112:113]
	v_add_f64_e32 v[0:1], v[0:1], v[114:115]
	s_delay_alu instid0(VALU_DEP_2) | instskip(NEXT) | instid1(VALU_DEP_2)
	v_add_f64_e32 v[4:5], v[4:5], v[116:117]
	v_add_f64_e32 v[0:1], v[0:1], v[118:119]
	s_delay_alu instid0(VALU_DEP_2) | instskip(NEXT) | instid1(VALU_DEP_2)
	v_add_f64_e32 v[4:5], v[4:5], v[170:171]
	v_add_f64_e32 v[0:1], v[0:1], v[2:3]
	s_delay_alu instid0(VALU_DEP_2) | instskip(SKIP_1) | instid1(VALU_DEP_3)
	v_add_f64_e32 v[2:3], v[4:5], v[124:125]
	v_fma_f64 v[4:5], v[142:143], s[22:23], -v[66:67]
	v_add_f64_e32 v[0:1], v[0:1], v[126:127]
	s_delay_alu instid0(VALU_DEP_3) | instskip(SKIP_1) | instid1(VALU_DEP_3)
	v_add_f64_e32 v[2:3], v[2:3], v[128:129]
	s_wait_loadcnt 0x2
	v_add_f64_e32 v[4:5], v[4:5], v[6:7]
	v_fma_f64 v[6:7], v[150:151], s[48:49], v[110:111]
	s_delay_alu instid0(VALU_DEP_4) | instskip(NEXT) | instid1(VALU_DEP_4)
	v_add_f64_e32 v[0:1], v[0:1], v[130:131]
	v_add_f64_e32 v[2:3], v[2:3], v[132:133]
	s_wait_loadcnt 0x1
	s_delay_alu instid0(VALU_DEP_3) | instskip(SKIP_1) | instid1(VALU_DEP_4)
	v_add_f64_e32 v[6:7], v[6:7], v[8:9]
	v_fma_f64 v[8:9], v[214:215], s[14:15], -v[144:145]
	v_add_f64_e32 v[0:1], v[0:1], v[134:135]
	s_delay_alu instid0(VALU_DEP_4) | instskip(NEXT) | instid1(VALU_DEP_3)
	v_add_f64_e32 v[2:3], v[2:3], v[136:137]
	v_add_f64_e32 v[4:5], v[8:9], v[4:5]
	v_fma_f64 v[8:9], v[218:219], s[26:27], v[146:147]
	s_delay_alu instid0(VALU_DEP_4) | instskip(NEXT) | instid1(VALU_DEP_4)
	v_add_f64_e32 v[0:1], v[0:1], v[108:109]
	v_add_f64_e32 v[2:3], v[2:3], v[138:139]
	s_delay_alu instid0(VALU_DEP_3) | instskip(SKIP_1) | instid1(VALU_DEP_1)
	v_add_f64_e32 v[6:7], v[8:9], v[6:7]
	v_fma_f64 v[8:9], v[238:239], s[34:35], -v[154:155]
	v_add_f64_e32 v[4:5], v[8:9], v[4:5]
	v_fma_f64 v[8:9], v[242:243], s[30:31], v[156:157]
	s_delay_alu instid0(VALU_DEP_1) | instskip(SKIP_1) | instid1(VALU_DEP_1)
	v_add_f64_e32 v[6:7], v[8:9], v[6:7]
	v_fma_f64 v[8:9], v[250:251], s[18:19], -v[158:159]
	v_add_f64_e32 v[4:5], v[8:9], v[4:5]
	v_fma_f64 v[8:9], v[254:255], s[40:41], v[160:161]
	s_delay_alu instid0(VALU_DEP_1) | instskip(SKIP_1) | instid1(VALU_DEP_1)
	;; [unrolled: 5-line block ×3, first 2 shown]
	v_add_f64_e32 v[6:7], v[8:9], v[6:7]
	v_fma_f64 v[8:9], v[41:42], s[38:39], -v[172:173]
	v_add_f64_e32 v[4:5], v[8:9], v[4:5]
	v_fma_f64 v[8:9], v[45:46], s[36:37], v[174:175]
	s_delay_alu instid0(VALU_DEP_1) | instskip(SKIP_1) | instid1(VALU_DEP_2)
	v_add_f64_e32 v[6:7], v[8:9], v[6:7]
	v_fma_f64 v[8:9], v[53:54], s[12:13], -v[206:207]
	v_add_f64_e32 v[6:7], v[10:11], v[6:7]
	scratch_load_b64 v[10:11], off, off offset:392 th:TH_LOAD_LU ; 8-byte Folded Reload
	v_add_f64_e32 v[4:5], v[8:9], v[4:5]
	v_fma_f64 v[8:9], v[142:143], s[12:13], v[12:13]
	v_fma_f64 v[12:13], v[142:143], s[12:13], -v[12:13]
	s_wait_loadcnt 0x0
	s_delay_alu instid0(VALU_DEP_2) | instskip(SKIP_2) | instid1(VALU_DEP_2)
	v_add_f64_e32 v[8:9], v[8:9], v[10:11]
	v_fma_f64 v[10:11], v[150:151], s[10:11], v[14:15]
	v_fma_f64 v[14:15], v[150:151], s[42:43], v[14:15]
	v_add_f64_e32 v[10:11], v[10:11], v[16:17]
	v_mul_f64_e32 v[16:17], s[16:17], v[234:235]
	s_delay_alu instid0(VALU_DEP_1) | instskip(SKIP_1) | instid1(VALU_DEP_2)
	v_fma_f64 v[18:19], v[214:215], s[18:19], v[16:17]
	v_fma_f64 v[16:17], v[214:215], s[18:19], -v[16:17]
	v_add_f64_e32 v[8:9], v[18:19], v[8:9]
	v_mul_f64_e32 v[18:19], s[18:19], v[236:237]
	s_delay_alu instid0(VALU_DEP_1) | instskip(NEXT) | instid1(VALU_DEP_1)
	v_fma_f64 v[21:22], v[218:219], s[40:41], v[18:19]
	v_add_f64_e32 v[10:11], v[21:22], v[10:11]
	v_mul_f64_e32 v[21:22], s[50:51], v[246:247]
	s_delay_alu instid0(VALU_DEP_1) | instskip(NEXT) | instid1(VALU_DEP_1)
	v_fma_f64 v[66:67], v[238:239], s[28:29], v[21:22]
	;; [unrolled: 4-line block ×3, first 2 shown]
	v_add_f64_e32 v[10:11], v[100:101], v[10:11]
	v_mul_f64_e32 v[100:101], s[26:27], v[33:34]
	v_mul_f64_e32 v[33:34], s[24:25], v[33:34]
	s_delay_alu instid0(VALU_DEP_2) | instskip(NEXT) | instid1(VALU_DEP_1)
	v_fma_f64 v[102:103], v[250:251], s[14:15], v[100:101]
	v_add_f64_e32 v[8:9], v[102:103], v[8:9]
	v_mul_f64_e32 v[102:103], s[14:15], v[35:36]
	v_mul_f64_e32 v[35:36], s[28:29], v[35:36]
	s_delay_alu instid0(VALU_DEP_2) | instskip(NEXT) | instid1(VALU_DEP_1)
	v_fma_f64 v[104:105], v[254:255], s[46:47], v[102:103]
	;; [unrolled: 5-line block ×8, first 2 shown]
	v_add_f64_e32 v[10:11], v[116:117], v[10:11]
	scratch_load_b64 v[116:117], off, off offset:376 th:TH_LOAD_LU ; 8-byte Folded Reload
	s_wait_loadcnt 0x0
	v_add_f64_e32 v[12:13], v[12:13], v[116:117]
	scratch_load_b64 v[116:117], off, off offset:368 th:TH_LOAD_LU ; 8-byte Folded Reload
	v_add_f64_e32 v[12:13], v[16:17], v[12:13]
	v_fma_f64 v[16:17], v[218:219], s[16:17], v[18:19]
	v_fma_f64 v[18:19], v[57:58], s[20:21], v[114:115]
	s_wait_loadcnt 0x0
	v_add_f64_e32 v[14:15], v[14:15], v[116:117]
	s_delay_alu instid0(VALU_DEP_1) | instskip(SKIP_2) | instid1(VALU_DEP_2)
	v_add_f64_e32 v[14:15], v[16:17], v[14:15]
	v_fma_f64 v[16:17], v[238:239], s[28:29], -v[21:22]
	v_mul_f64_e32 v[21:22], s[46:47], v[162:163]
	v_add_f64_e32 v[12:13], v[16:17], v[12:13]
	v_fma_f64 v[16:17], v[242:243], s[50:51], v[66:67]
	v_mul_f64_e32 v[66:67], s[14:15], v[204:205]
	s_delay_alu instid0(VALU_DEP_2) | instskip(SKIP_4) | instid1(VALU_DEP_1)
	v_add_f64_e32 v[14:15], v[16:17], v[14:15]
	v_fma_f64 v[16:17], v[250:251], s[14:15], -v[100:101]
	scratch_load_b64 v[100:101], off, off offset:336 th:TH_LOAD_LU ; 8-byte Folded Reload
	v_add_f64_e32 v[12:13], v[16:17], v[12:13]
	v_fma_f64 v[16:17], v[254:255], s[26:27], v[102:103]
	v_add_f64_e32 v[14:15], v[16:17], v[14:15]
	v_fma_f64 v[16:17], v[25:26], s[38:39], -v[104:105]
	s_delay_alu instid0(VALU_DEP_1) | instskip(SKIP_1) | instid1(VALU_DEP_1)
	v_add_f64_e32 v[12:13], v[16:17], v[12:13]
	v_fma_f64 v[16:17], v[29:30], s[36:37], v[106:107]
	v_add_f64_e32 v[14:15], v[16:17], v[14:15]
	v_fma_f64 v[16:17], v[41:42], s[8:9], -v[108:109]
	s_delay_alu instid0(VALU_DEP_1) | instskip(SKIP_1) | instid1(VALU_DEP_1)
	v_add_f64_e32 v[12:13], v[16:17], v[12:13]
	v_fma_f64 v[16:17], v[45:46], s[44:45], v[110:111]
	v_add_f64_e32 v[14:15], v[16:17], v[14:15]
	v_fma_f64 v[16:17], v[53:54], s[22:23], -v[112:113]
	s_delay_alu instid0(VALU_DEP_2)
	v_add_f64_e32 v[14:15], v[18:19], v[14:15]
	scratch_load_b64 v[18:19], off, off offset:352 th:TH_LOAD_LU ; 8-byte Folded Reload
	v_add_f64_e32 v[12:13], v[16:17], v[12:13]
	v_fma_f64 v[16:17], v[142:143], s[14:15], v[21:22]
	v_fma_f64 v[21:22], v[142:143], s[14:15], -v[21:22]
	s_wait_loadcnt 0x0
	s_delay_alu instid0(VALU_DEP_2) | instskip(SKIP_2) | instid1(VALU_DEP_2)
	v_add_f64_e32 v[16:17], v[16:17], v[18:19]
	v_fma_f64 v[18:19], v[150:151], s[26:27], v[66:67]
	v_fma_f64 v[66:67], v[150:151], s[46:47], v[66:67]
	v_add_f64_e32 v[18:19], v[18:19], v[100:101]
	v_mul_f64_e32 v[100:101], s[30:31], v[234:235]
	s_delay_alu instid0(VALU_DEP_1) | instskip(SKIP_1) | instid1(VALU_DEP_2)
	v_fma_f64 v[102:103], v[214:215], s[34:35], v[100:101]
	v_fma_f64 v[100:101], v[214:215], s[34:35], -v[100:101]
	v_add_f64_e32 v[16:17], v[102:103], v[16:17]
	v_mul_f64_e32 v[102:103], s[34:35], v[236:237]
	s_delay_alu instid0(VALU_DEP_1) | instskip(NEXT) | instid1(VALU_DEP_1)
	v_fma_f64 v[104:105], v[218:219], s[52:53], v[102:103]
	v_add_f64_e32 v[18:19], v[104:105], v[18:19]
	v_mul_f64_e32 v[104:105], s[44:45], v[246:247]
	s_delay_alu instid0(VALU_DEP_1) | instskip(NEXT) | instid1(VALU_DEP_1)
	v_fma_f64 v[106:107], v[238:239], s[8:9], v[104:105]
	;; [unrolled: 4-line block ×3, first 2 shown]
	v_add_f64_e32 v[18:19], v[108:109], v[18:19]
	v_fma_f64 v[108:109], v[250:251], s[28:29], v[33:34]
	v_fma_f64 v[33:34], v[250:251], s[28:29], -v[33:34]
	s_delay_alu instid0(VALU_DEP_2) | instskip(SKIP_1) | instid1(VALU_DEP_1)
	v_add_f64_e32 v[16:17], v[108:109], v[16:17]
	v_fma_f64 v[108:109], v[254:255], s[50:51], v[35:36]
	v_add_f64_e32 v[18:19], v[108:109], v[18:19]
	v_fma_f64 v[108:109], v[25:26], s[12:13], v[37:38]
	s_delay_alu instid0(VALU_DEP_1) | instskip(SKIP_1) | instid1(VALU_DEP_1)
	v_add_f64_e32 v[16:17], v[108:109], v[16:17]
	v_fma_f64 v[108:109], v[29:30], s[10:11], v[39:40]
	v_add_f64_e32 v[18:19], v[108:109], v[18:19]
	v_fma_f64 v[108:109], v[41:42], s[22:23], v[47:48]
	s_delay_alu instid0(VALU_DEP_1) | instskip(SKIP_1) | instid1(VALU_DEP_1)
	v_add_f64_e32 v[16:17], v[108:109], v[16:17]
	v_fma_f64 v[108:109], v[45:46], s[48:49], v[51:52]
	v_add_f64_e32 v[18:19], v[108:109], v[18:19]
	v_fma_f64 v[108:109], v[53:54], s[18:19], v[61:62]
	s_delay_alu instid0(VALU_DEP_1) | instskip(SKIP_1) | instid1(VALU_DEP_1)
	v_add_f64_e32 v[16:17], v[108:109], v[16:17]
	v_fma_f64 v[108:109], v[57:58], s[16:17], v[63:64]
	v_add_f64_e32 v[18:19], v[108:109], v[18:19]
	scratch_load_b64 v[108:109], off, off offset:320 th:TH_LOAD_LU ; 8-byte Folded Reload
	s_wait_loadcnt 0x0
	v_add_f64_e32 v[21:22], v[21:22], v[108:109]
	scratch_load_b64 v[108:109], off, off offset:304 th:TH_LOAD_LU ; 8-byte Folded Reload
	v_add_f64_e32 v[21:22], v[100:101], v[21:22]
	v_fma_f64 v[100:101], v[218:219], s[30:31], v[102:103]
	s_wait_loadcnt 0x0
	v_add_f64_e32 v[66:67], v[66:67], v[108:109]
	s_delay_alu instid0(VALU_DEP_1) | instskip(SKIP_1) | instid1(VALU_DEP_1)
	v_add_f64_e32 v[66:67], v[100:101], v[66:67]
	v_fma_f64 v[100:101], v[238:239], s[8:9], -v[104:105]
	v_add_f64_e32 v[21:22], v[100:101], v[21:22]
	v_fma_f64 v[100:101], v[242:243], s[44:45], v[106:107]
	s_delay_alu instid0(VALU_DEP_2) | instskip(SKIP_2) | instid1(VALU_DEP_4)
	v_add_f64_e32 v[21:22], v[33:34], v[21:22]
	v_fma_f64 v[33:34], v[254:255], s[24:25], v[35:36]
	v_fma_f64 v[35:36], v[25:26], s[12:13], -v[37:38]
	v_add_f64_e32 v[66:67], v[100:101], v[66:67]
	v_fma_f64 v[37:38], v[57:58], s[40:41], v[63:64]
	v_fma_f64 v[25:26], v[25:26], s[28:29], -v[27:28]
	v_fma_f64 v[27:28], v[29:30], s[24:25], v[31:32]
	v_add_f64_e32 v[21:22], v[35:36], v[21:22]
	v_fma_f64 v[35:36], v[29:30], s[42:43], v[39:40]
	scratch_load_b64 v[39:40], off, off offset:288 th:TH_LOAD_LU ; 8-byte Folded Reload
	v_add_f64_e32 v[33:34], v[33:34], v[66:67]
	s_delay_alu instid0(VALU_DEP_1) | instskip(SKIP_2) | instid1(VALU_DEP_2)
	v_add_f64_e32 v[33:34], v[35:36], v[33:34]
	v_fma_f64 v[35:36], v[41:42], s[22:23], -v[47:48]
	v_fma_f64 v[47:48], v[218:219], s[10:11], v[220:221]
	v_add_f64_e32 v[21:22], v[35:36], v[21:22]
	v_fma_f64 v[35:36], v[45:46], s[20:21], v[51:52]
	s_delay_alu instid0(VALU_DEP_1) | instskip(SKIP_1) | instid1(VALU_DEP_2)
	v_add_f64_e32 v[35:36], v[35:36], v[33:34]
	v_fma_f64 v[33:34], v[53:54], s[18:19], -v[61:62]
	v_add_f64_e32 v[35:36], v[37:38], v[35:36]
	s_delay_alu instid0(VALU_DEP_2) | instskip(SKIP_3) | instid1(VALU_DEP_2)
	v_add_f64_e32 v[33:34], v[33:34], v[21:22]
	v_fma_f64 v[21:22], v[142:143], s[8:9], -v[148:149]
	v_fma_f64 v[37:38], v[150:151], s[0:1], v[152:153]
	s_wait_loadcnt 0x0
	v_add_f64_e32 v[21:22], v[21:22], v[39:40]
	scratch_load_b64 v[39:40], off, off offset:296 th:TH_LOAD_LU ; 8-byte Folded Reload
	global_wb scope:SCOPE_SE
	s_wait_loadcnt 0x0
	s_wait_storecnt 0x0
	s_barrier_signal -1
	s_barrier_wait -1
	global_inv scope:SCOPE_SE
	ds_store_b128 v65, v[0:3]
	ds_store_b128 v65, v[72:75] offset:544
	ds_store_b128 v65, v[80:83] offset:1088
	;; [unrolled: 1-line block ×8, first 2 shown]
	v_add_f64_e32 v[37:38], v[37:38], v[39:40]
	v_fma_f64 v[39:40], v[214:215], s[12:13], -v[216:217]
	s_delay_alu instid0(VALU_DEP_2) | instskip(NEXT) | instid1(VALU_DEP_2)
	v_add_f64_e32 v[37:38], v[47:48], v[37:38]
	v_add_f64_e32 v[21:22], v[39:40], v[21:22]
	v_fma_f64 v[39:40], v[238:239], s[18:19], -v[240:241]
	v_fma_f64 v[47:48], v[242:243], s[16:17], v[244:245]
	s_delay_alu instid0(VALU_DEP_2) | instskip(NEXT) | instid1(VALU_DEP_2)
	v_add_f64_e32 v[21:22], v[39:40], v[21:22]
	v_add_f64_e32 v[37:38], v[47:48], v[37:38]
	v_fma_f64 v[39:40], v[250:251], s[22:23], -v[252:253]
	s_delay_alu instid0(VALU_DEP_2) | instskip(NEXT) | instid1(VALU_DEP_2)
	v_add_f64_e32 v[23:24], v[23:24], v[37:38]
	v_add_f64_e32 v[21:22], v[39:40], v[21:22]
	s_delay_alu instid0(VALU_DEP_2) | instskip(NEXT) | instid1(VALU_DEP_2)
	v_add_f64_e32 v[23:24], v[27:28], v[23:24]
	v_add_f64_e32 v[21:22], v[25:26], v[21:22]
	v_fma_f64 v[25:26], v[41:42], s[34:35], -v[43:44]
	v_fma_f64 v[27:28], v[45:46], s[30:31], v[49:50]
	s_delay_alu instid0(VALU_DEP_2) | instskip(NEXT) | instid1(VALU_DEP_2)
	v_add_f64_e32 v[21:22], v[25:26], v[21:22]
	v_add_f64_e32 v[23:24], v[27:28], v[23:24]
	v_fma_f64 v[25:26], v[53:54], s[38:39], -v[55:56]
	v_fma_f64 v[27:28], v[57:58], s[36:37], v[59:60]
	s_delay_alu instid0(VALU_DEP_2) | instskip(NEXT) | instid1(VALU_DEP_2)
	v_add_f64_e32 v[100:101], v[25:26], v[21:22]
	v_add_f64_e32 v[102:103], v[27:28], v[23:24]
	ds_store_b128 v65, v[33:36] offset:4896
	ds_store_b128 v65, v[12:15] offset:5440
	ds_store_b128 v65, v[4:7] offset:5984
	ds_store_b128 v65, v[226:229] offset:6528
	ds_store_b128 v65, v[92:95] offset:7072
	ds_store_b128 v65, v[84:87] offset:7616
	ds_store_b128 v65, v[76:79] offset:8160
	ds_store_b128 v65, v[100:103] offset:8704
	global_wb scope:SCOPE_SE
	s_wait_dscnt 0x0
	s_barrier_signal -1
	s_barrier_wait -1
	global_inv scope:SCOPE_SE
	ds_load_b128 v[72:75], v20
	ds_load_b128 v[0:3], v20 offset:9248
	ds_load_b128 v[76:79], v20 offset:1088
	;; [unrolled: 1-line block ×15, first 2 shown]
	v_add_nc_u32_e32 v22, 0x1980, v20
	v_add_nc_u32_e32 v21, 0x1dc0, v20
	s_and_saveexec_b32 s0, vcc_lo
	s_cbranch_execz .LBB0_15
; %bb.14:
	ds_load_b128 v[100:103], v20 offset:8704
	ds_load_b128 v[68:71], v20 offset:17952
.LBB0_15:
	s_wait_alu 0xfffe
	s_or_b32 exec_lo, exec_lo, s0
	s_wait_dscnt 0xe
	v_mul_f64_e32 v[23:24], v[122:123], v[2:3]
	v_mul_f64_e32 v[25:26], v[122:123], v[0:1]
	s_wait_dscnt 0x8
	v_mul_f64_e32 v[35:36], v[186:187], v[14:15]
	v_mul_f64_e32 v[37:38], v[186:187], v[12:13]
	;; [unrolled: 1-line block ×6, first 2 shown]
	s_wait_dscnt 0x6
	v_mul_f64_e32 v[39:40], v[190:191], v[18:19]
	v_mul_f64_e32 v[41:42], v[190:191], v[16:17]
	s_wait_dscnt 0x4
	v_mul_f64_e32 v[43:44], v[194:195], v[110:111]
	v_mul_f64_e32 v[45:46], v[194:195], v[108:109]
	s_wait_dscnt 0x2
	v_mul_f64_e32 v[47:48], v[198:199], v[114:115]
	v_mul_f64_e32 v[49:50], v[198:199], v[112:113]
	s_wait_dscnt 0x0
	v_mul_f64_e32 v[51:52], v[202:203], v[118:119]
	v_mul_f64_e32 v[53:54], v[202:203], v[116:117]
	v_fma_f64 v[0:1], v[120:121], v[0:1], v[23:24]
	v_fma_f64 v[2:3], v[120:121], v[2:3], -v[25:26]
	v_fma_f64 v[12:13], v[184:185], v[12:13], v[35:36]
	v_fma_f64 v[14:15], v[184:185], v[14:15], -v[37:38]
	;; [unrolled: 2-line block ×8, first 2 shown]
	v_add_f64_e64 v[0:1], v[72:73], -v[0:1]
	v_add_f64_e64 v[2:3], v[74:75], -v[2:3]
	;; [unrolled: 1-line block ×16, first 2 shown]
	v_fma_f64 v[35:36], v[72:73], 2.0, -v[0:1]
	v_fma_f64 v[37:38], v[74:75], 2.0, -v[2:3]
	;; [unrolled: 1-line block ×16, first 2 shown]
	ds_store_b128 v20, v[35:38]
	scratch_load_b32 v35, off, off offset:4 ; 4-byte Folded Reload
	s_wait_loadcnt 0x0
	ds_store_b128 v35, v[0:3] offset:9248
	ds_store_b128 v20, v[39:42] offset:1088
	;; [unrolled: 1-line block ×15, first 2 shown]
	s_and_saveexec_b32 s0, vcc_lo
	s_cbranch_execz .LBB0_17
; %bb.16:
	scratch_load_b128 v[4:7], off, off offset:428 th:TH_LOAD_LU ; 16-byte Folded Reload
	s_wait_loadcnt 0x0
	v_mul_f64_e32 v[0:1], v[6:7], v[68:69]
	v_mul_f64_e32 v[2:3], v[6:7], v[70:71]
	s_delay_alu instid0(VALU_DEP_2) | instskip(NEXT) | instid1(VALU_DEP_2)
	v_fma_f64 v[0:1], v[4:5], v[70:71], -v[0:1]
	v_fma_f64 v[4:5], v[4:5], v[68:69], v[2:3]
	s_delay_alu instid0(VALU_DEP_2) | instskip(NEXT) | instid1(VALU_DEP_2)
	v_add_f64_e64 v[2:3], v[102:103], -v[0:1]
	v_add_f64_e64 v[0:1], v[100:101], -v[4:5]
	s_delay_alu instid0(VALU_DEP_2) | instskip(NEXT) | instid1(VALU_DEP_2)
	v_fma_f64 v[6:7], v[102:103], 2.0, -v[2:3]
	v_fma_f64 v[4:5], v[100:101], 2.0, -v[0:1]
	ds_store_b128 v20, v[4:7] offset:8704
	ds_store_b128 v35, v[0:3] offset:17952
.LBB0_17:
	s_wait_alu 0xfffe
	s_or_b32 exec_lo, exec_lo, s0
	global_wb scope:SCOPE_SE
	s_wait_dscnt 0x0
	s_barrier_signal -1
	s_barrier_wait -1
	global_inv scope:SCOPE_SE
	ds_load_b128 v[0:3], v20
	ds_load_b128 v[4:7], v20 offset:1088
	ds_load_b128 v[8:11], v20 offset:2176
	;; [unrolled: 1-line block ×5, first 2 shown]
	s_clause 0x3
	scratch_load_b128 v[111:114], off, off offset:16 th:TH_LOAD_LU
	scratch_load_b128 v[125:128], off, off offset:112 th:TH_LOAD_LU
	scratch_load_b64 v[25:26], off, off offset:8 th:TH_LOAD_LU
	scratch_load_b32 v99, off, off th:TH_LOAD_LU
	s_mov_b32 s0, 0xd10d4986
	s_mov_b32 s1, 0x3f4c5894
	s_mul_u64 s[8:9], s[4:5], 0x440
	s_wait_loadcnt_dscnt 0x305
	v_mul_f64_e32 v[71:72], v[113:114], v[2:3]
	v_mul_f64_e32 v[73:74], v[113:114], v[0:1]
	scratch_load_b128 v[113:116], off, off offset:32 th:TH_LOAD_LU ; 16-byte Folded Reload
	s_wait_loadcnt 0x2
	v_mov_b32_e32 v97, v25
	s_wait_dscnt 0x0
	v_mul_f64_e32 v[91:92], v[127:128], v[23:24]
	v_mul_f64_e32 v[93:94], v[127:128], v[21:22]
	ds_load_b128 v[25:28], v20 offset:6528
	s_wait_loadcnt 0x1
	v_mad_co_u64_u32 v[95:96], null, s4, v99, 0
	v_mad_co_u64_u32 v[69:70], null, s6, v97, 0
	s_delay_alu instid0(VALU_DEP_1) | instskip(SKIP_2) | instid1(VALU_DEP_3)
	v_mad_co_u64_u32 v[97:98], null, s7, v97, v[70:71]
	v_fma_f64 v[0:1], v[111:112], v[0:1], v[71:72]
	v_fma_f64 v[2:3], v[111:112], v[2:3], -v[73:74]
	v_mad_co_u64_u32 v[98:99], null, s5, v99, v[96:97]
	v_mov_b32_e32 v70, v97
	s_delay_alu instid0(VALU_DEP_1) | instskip(NEXT) | instid1(VALU_DEP_3)
	v_lshlrev_b64_e32 v[69:70], 4, v[69:70]
	v_mov_b32_e32 v96, v98
	s_delay_alu instid0(VALU_DEP_1)
	v_lshlrev_b64_e32 v[95:96], 4, v[95:96]
	s_wait_alu 0xfffe
	v_mul_f64_e32 v[0:1], s[0:1], v[0:1]
	v_mul_f64_e32 v[2:3], s[0:1], v[2:3]
	s_wait_loadcnt 0x0
	v_mul_f64_e32 v[75:76], v[115:116], v[6:7]
	v_mul_f64_e32 v[77:78], v[115:116], v[4:5]
	scratch_load_b128 v[115:118], off, off offset:48 th:TH_LOAD_LU ; 16-byte Folded Reload
	v_fma_f64 v[4:5], v[113:114], v[4:5], v[75:76]
	v_fma_f64 v[6:7], v[113:114], v[6:7], -v[77:78]
	s_delay_alu instid0(VALU_DEP_2) | instskip(NEXT) | instid1(VALU_DEP_2)
	v_mul_f64_e32 v[4:5], s[0:1], v[4:5]
	v_mul_f64_e32 v[6:7], s[0:1], v[6:7]
	s_wait_loadcnt 0x0
	v_mul_f64_e32 v[79:80], v[117:118], v[10:11]
	v_mul_f64_e32 v[81:82], v[117:118], v[8:9]
	scratch_load_b128 v[117:120], off, off offset:64 th:TH_LOAD_LU ; 16-byte Folded Reload
	v_fma_f64 v[8:9], v[115:116], v[8:9], v[79:80]
	v_fma_f64 v[10:11], v[115:116], v[10:11], -v[81:82]
	s_delay_alu instid0(VALU_DEP_2) | instskip(NEXT) | instid1(VALU_DEP_2)
	v_mul_f64_e32 v[8:9], s[0:1], v[8:9]
	v_mul_f64_e32 v[10:11], s[0:1], v[10:11]
	s_wait_loadcnt 0x0
	v_mul_f64_e32 v[83:84], v[119:120], v[14:15]
	v_mul_f64_e32 v[85:86], v[119:120], v[12:13]
	scratch_load_b128 v[119:122], off, off offset:80 th:TH_LOAD_LU ; 16-byte Folded Reload
	ds_load_b128 v[29:32], v20 offset:7616
	ds_load_b128 v[33:36], v20 offset:8704
	;; [unrolled: 1-line block ×10, first 2 shown]
	v_fma_f64 v[20:21], v[125:126], v[21:22], v[91:92]
	v_fma_f64 v[22:23], v[125:126], v[23:24], -v[93:94]
	v_add_co_u32 v24, vcc_lo, s2, v69
	s_wait_alu 0xfffd
	v_add_co_ci_u32_e32 v111, vcc_lo, s3, v70, vcc_lo
	scratch_load_b128 v[127:130], off, off offset:128 th:TH_LOAD_LU ; 16-byte Folded Reload
	v_add_co_u32 v95, vcc_lo, v24, v95
	s_wait_alu 0xfffd
	v_add_co_ci_u32_e32 v96, vcc_lo, v111, v96, vcc_lo
	s_delay_alu instid0(VALU_DEP_2) | instskip(SKIP_1) | instid1(VALU_DEP_2)
	v_add_co_u32 v113, vcc_lo, v95, s8
	s_wait_alu 0xfffd
	v_add_co_ci_u32_e32 v114, vcc_lo, s9, v96, vcc_lo
	v_fma_f64 v[12:13], v[117:118], v[12:13], v[83:84]
	v_fma_f64 v[14:15], v[117:118], v[14:15], -v[85:86]
	v_add_co_u32 v117, vcc_lo, v113, s8
	s_wait_alu 0xfffd
	v_add_co_ci_u32_e32 v118, vcc_lo, s9, v114, vcc_lo
	v_mul_f64_e32 v[20:21], s[0:1], v[20:21]
	v_mul_f64_e32 v[22:23], s[0:1], v[22:23]
	;; [unrolled: 1-line block ×4, first 2 shown]
	s_wait_loadcnt 0x1
	v_mul_f64_e32 v[87:88], v[121:122], v[18:19]
	v_mul_f64_e32 v[89:90], v[121:122], v[16:17]
	scratch_load_b128 v[121:124], off, off offset:96 th:TH_LOAD_LU ; 16-byte Folded Reload
	s_wait_loadcnt_dscnt 0x109
	v_mul_f64_e32 v[103:104], v[129:130], v[31:32]
	v_mul_f64_e32 v[105:106], v[129:130], v[29:30]
	scratch_load_b128 v[129:132], off, off offset:144 th:TH_LOAD_LU ; 16-byte Folded Reload
	v_fma_f64 v[16:17], v[119:120], v[16:17], v[87:88]
	v_fma_f64 v[18:19], v[119:120], v[18:19], -v[89:90]
	s_delay_alu instid0(VALU_DEP_2) | instskip(NEXT) | instid1(VALU_DEP_2)
	v_mul_f64_e32 v[16:17], s[0:1], v[16:17]
	v_mul_f64_e32 v[18:19], s[0:1], v[18:19]
	s_wait_loadcnt 0x1
	v_mul_f64_e32 v[99:100], v[123:124], v[27:28]
	v_mul_f64_e32 v[101:102], v[123:124], v[25:26]
	scratch_load_b128 v[123:126], off, off offset:160 th:TH_LOAD_LU ; 16-byte Folded Reload
	s_wait_loadcnt_dscnt 0x108
	v_mul_f64_e32 v[107:108], v[131:132], v[35:36]
	v_mul_f64_e32 v[109:110], v[131:132], v[33:34]
	scratch_load_b128 v[131:134], off, off offset:176 th:TH_LOAD_LU ; 16-byte Folded Reload
	v_fma_f64 v[24:25], v[121:122], v[25:26], v[99:100]
	v_fma_f64 v[26:27], v[121:122], v[27:28], -v[101:102]
	v_fma_f64 v[28:29], v[127:128], v[29:30], v[103:104]
	v_fma_f64 v[30:31], v[127:128], v[31:32], -v[105:106]
	v_add_co_u32 v99, vcc_lo, v117, s8
	s_wait_alu 0xfffd
	v_add_co_ci_u32_e32 v100, vcc_lo, s9, v118, vcc_lo
	s_delay_alu instid0(VALU_DEP_2) | instskip(SKIP_1) | instid1(VALU_DEP_2)
	v_add_co_u32 v101, vcc_lo, v99, s8
	s_wait_alu 0xfffd
	v_add_co_ci_u32_e32 v102, vcc_lo, s9, v100, vcc_lo
	v_fma_f64 v[32:33], v[129:130], v[33:34], v[107:108]
	v_fma_f64 v[34:35], v[129:130], v[35:36], -v[109:110]
	s_wait_loadcnt_dscnt 0x107
	v_mul_f64_e32 v[71:72], v[125:126], v[39:40]
	v_mul_f64_e32 v[73:74], v[125:126], v[37:38]
	s_wait_loadcnt_dscnt 0x6
	v_mul_f64_e32 v[75:76], v[133:134], v[43:44]
	v_mul_f64_e32 v[77:78], v[133:134], v[41:42]
	scratch_load_b128 v[133:136], off, off offset:192 th:TH_LOAD_LU ; 16-byte Folded Reload
	v_fma_f64 v[36:37], v[123:124], v[37:38], v[71:72]
	v_add_co_u32 v71, vcc_lo, v101, s8
	s_wait_alu 0xfffd
	v_add_co_ci_u32_e32 v72, vcc_lo, s9, v102, vcc_lo
	v_fma_f64 v[38:39], v[123:124], v[39:40], -v[73:74]
	v_fma_f64 v[40:41], v[131:132], v[41:42], v[75:76]
	v_fma_f64 v[42:43], v[131:132], v[43:44], -v[77:78]
	s_wait_loadcnt_dscnt 0x5
	v_mul_f64_e32 v[79:80], v[135:136], v[47:48]
	v_mul_f64_e32 v[81:82], v[135:136], v[45:46]
	scratch_load_b128 v[135:138], off, off offset:208 th:TH_LOAD_LU ; 16-byte Folded Reload
	s_wait_loadcnt_dscnt 0x4
	v_mul_f64_e32 v[83:84], v[137:138], v[51:52]
	v_mul_f64_e32 v[85:86], v[137:138], v[49:50]
	scratch_load_b128 v[137:140], off, off offset:224 th:TH_LOAD_LU ; 16-byte Folded Reload
	;; [unrolled: 4-line block ×5, first 2 shown]
	s_clause 0x4
	global_store_b128 v[95:96], v[0:3], off
	global_store_b128 v[113:114], v[4:7], off
	global_store_b128 v[117:118], v[8:11], off
	global_store_b128 v[99:100], v[12:15], off
	global_store_b128 v[101:102], v[16:19], off
	global_store_b128 v[71:72], v[20:23], off
	v_fma_f64 v[20:21], v[133:134], v[45:46], v[79:80]
	v_fma_f64 v[22:23], v[133:134], v[47:48], -v[81:82]
	v_fma_f64 v[44:45], v[135:136], v[49:50], v[83:84]
	v_fma_f64 v[46:47], v[135:136], v[51:52], -v[85:86]
	;; [unrolled: 2-line block ×4, first 2 shown]
	v_mul_f64_e32 v[0:1], s[0:1], v[24:25]
	v_mul_f64_e32 v[2:3], s[0:1], v[26:27]
	v_mul_f64_e32 v[4:5], s[0:1], v[28:29]
	v_mul_f64_e32 v[6:7], s[0:1], v[30:31]
	v_mul_f64_e32 v[8:9], s[0:1], v[32:33]
	v_mul_f64_e32 v[10:11], s[0:1], v[34:35]
	v_mul_f64_e32 v[12:13], s[0:1], v[36:37]
	v_mul_f64_e32 v[14:15], s[0:1], v[38:39]
	v_mul_f64_e32 v[16:17], s[0:1], v[40:41]
	v_mul_f64_e32 v[18:19], s[0:1], v[42:43]
	v_fma_f64 v[56:57], v[141:142], v[61:62], v[97:98]
	v_fma_f64 v[58:59], v[141:142], v[63:64], -v[69:70]
	v_add_co_u32 v64, vcc_lo, v71, s8
	v_mul_f64_e32 v[20:21], s[0:1], v[20:21]
	v_mul_f64_e32 v[22:23], s[0:1], v[22:23]
	;; [unrolled: 1-line block ×10, first 2 shown]
	s_wait_loadcnt_dscnt 0x0
	v_mul_f64_e32 v[111:112], v[145:146], v[67:68]
	v_mul_f64_e32 v[115:116], v[145:146], v[65:66]
	s_delay_alu instid0(VALU_DEP_2) | instskip(NEXT) | instid1(VALU_DEP_2)
	v_fma_f64 v[60:61], v[143:144], v[65:66], v[111:112]
	v_fma_f64 v[62:63], v[143:144], v[67:68], -v[115:116]
	s_wait_alu 0xfffd
	v_add_co_ci_u32_e32 v65, vcc_lo, s9, v72, vcc_lo
	v_add_co_u32 v66, vcc_lo, v64, s8
	s_wait_alu 0xfffd
	s_delay_alu instid0(VALU_DEP_2)
	v_add_co_ci_u32_e32 v67, vcc_lo, s9, v65, vcc_lo
	global_store_b128 v[64:65], v[0:3], off
	v_add_co_u32 v68, vcc_lo, v66, s8
	s_wait_alu 0xfffd
	v_add_co_ci_u32_e32 v69, vcc_lo, s9, v67, vcc_lo
	global_store_b128 v[66:67], v[4:7], off
	v_add_co_u32 v70, vcc_lo, v68, s8
	s_wait_alu 0xfffd
	;; [unrolled: 4-line block ×6, first 2 shown]
	v_add_co_ci_u32_e32 v5, vcc_lo, s9, v3, vcc_lo
	v_mul_f64_e32 v[40:41], s[0:1], v[60:61]
	v_mul_f64_e32 v[42:43], s[0:1], v[62:63]
	v_add_co_u32 v6, vcc_lo, v4, s8
	s_wait_alu 0xfffd
	v_add_co_ci_u32_e32 v7, vcc_lo, s9, v5, vcc_lo
	s_delay_alu instid0(VALU_DEP_2) | instskip(SKIP_1) | instid1(VALU_DEP_2)
	v_add_co_u32 v8, vcc_lo, v6, s8
	s_wait_alu 0xfffd
	v_add_co_ci_u32_e32 v9, vcc_lo, s9, v7, vcc_lo
	s_delay_alu instid0(VALU_DEP_2) | instskip(SKIP_1) | instid1(VALU_DEP_2)
	v_add_co_u32 v0, vcc_lo, v8, s8
	s_wait_alu 0xfffd
	v_add_co_ci_u32_e32 v1, vcc_lo, s9, v9, vcc_lo
	global_store_b128 v[2:3], v[24:27], off
	global_store_b128 v[4:5], v[28:31], off
	;; [unrolled: 1-line block ×5, first 2 shown]
.LBB0_18:
	s_nop 0
	s_sendmsg sendmsg(MSG_DEALLOC_VGPRS)
	s_endpgm
	.section	.rodata,"a",@progbits
	.p2align	6, 0x0
	.amdhsa_kernel bluestein_single_fwd_len1156_dim1_dp_op_CI_CI
		.amdhsa_group_segment_fixed_size 55488
		.amdhsa_private_segment_fixed_size 448
		.amdhsa_kernarg_size 104
		.amdhsa_user_sgpr_count 2
		.amdhsa_user_sgpr_dispatch_ptr 0
		.amdhsa_user_sgpr_queue_ptr 0
		.amdhsa_user_sgpr_kernarg_segment_ptr 1
		.amdhsa_user_sgpr_dispatch_id 0
		.amdhsa_user_sgpr_private_segment_size 0
		.amdhsa_wavefront_size32 1
		.amdhsa_uses_dynamic_stack 0
		.amdhsa_enable_private_segment 1
		.amdhsa_system_sgpr_workgroup_id_x 1
		.amdhsa_system_sgpr_workgroup_id_y 0
		.amdhsa_system_sgpr_workgroup_id_z 0
		.amdhsa_system_sgpr_workgroup_info 0
		.amdhsa_system_vgpr_workitem_id 0
		.amdhsa_next_free_vgpr 256
		.amdhsa_next_free_sgpr 56
		.amdhsa_reserve_vcc 1
		.amdhsa_float_round_mode_32 0
		.amdhsa_float_round_mode_16_64 0
		.amdhsa_float_denorm_mode_32 3
		.amdhsa_float_denorm_mode_16_64 3
		.amdhsa_fp16_overflow 0
		.amdhsa_workgroup_processor_mode 1
		.amdhsa_memory_ordered 1
		.amdhsa_forward_progress 0
		.amdhsa_round_robin_scheduling 0
		.amdhsa_exception_fp_ieee_invalid_op 0
		.amdhsa_exception_fp_denorm_src 0
		.amdhsa_exception_fp_ieee_div_zero 0
		.amdhsa_exception_fp_ieee_overflow 0
		.amdhsa_exception_fp_ieee_underflow 0
		.amdhsa_exception_fp_ieee_inexact 0
		.amdhsa_exception_int_div_zero 0
	.end_amdhsa_kernel
	.text
.Lfunc_end0:
	.size	bluestein_single_fwd_len1156_dim1_dp_op_CI_CI, .Lfunc_end0-bluestein_single_fwd_len1156_dim1_dp_op_CI_CI
                                        ; -- End function
	.section	.AMDGPU.csdata,"",@progbits
; Kernel info:
; codeLenInByte = 32468
; NumSgprs: 58
; NumVgprs: 256
; ScratchSize: 448
; MemoryBound: 0
; FloatMode: 240
; IeeeMode: 1
; LDSByteSize: 55488 bytes/workgroup (compile time only)
; SGPRBlocks: 7
; VGPRBlocks: 31
; NumSGPRsForWavesPerEU: 58
; NumVGPRsForWavesPerEU: 256
; Occupancy: 4
; WaveLimiterHint : 1
; COMPUTE_PGM_RSRC2:SCRATCH_EN: 1
; COMPUTE_PGM_RSRC2:USER_SGPR: 2
; COMPUTE_PGM_RSRC2:TRAP_HANDLER: 0
; COMPUTE_PGM_RSRC2:TGID_X_EN: 1
; COMPUTE_PGM_RSRC2:TGID_Y_EN: 0
; COMPUTE_PGM_RSRC2:TGID_Z_EN: 0
; COMPUTE_PGM_RSRC2:TIDIG_COMP_CNT: 0
	.text
	.p2alignl 7, 3214868480
	.fill 96, 4, 3214868480
	.type	__hip_cuid_17b45195caad15d9,@object ; @__hip_cuid_17b45195caad15d9
	.section	.bss,"aw",@nobits
	.globl	__hip_cuid_17b45195caad15d9
__hip_cuid_17b45195caad15d9:
	.byte	0                               ; 0x0
	.size	__hip_cuid_17b45195caad15d9, 1

	.ident	"AMD clang version 19.0.0git (https://github.com/RadeonOpenCompute/llvm-project roc-6.4.0 25133 c7fe45cf4b819c5991fe208aaa96edf142730f1d)"
	.section	".note.GNU-stack","",@progbits
	.addrsig
	.addrsig_sym __hip_cuid_17b45195caad15d9
	.amdgpu_metadata
---
amdhsa.kernels:
  - .args:
      - .actual_access:  read_only
        .address_space:  global
        .offset:         0
        .size:           8
        .value_kind:     global_buffer
      - .actual_access:  read_only
        .address_space:  global
        .offset:         8
        .size:           8
        .value_kind:     global_buffer
      - .actual_access:  read_only
        .address_space:  global
        .offset:         16
        .size:           8
        .value_kind:     global_buffer
      - .actual_access:  read_only
        .address_space:  global
        .offset:         24
        .size:           8
        .value_kind:     global_buffer
      - .actual_access:  read_only
        .address_space:  global
        .offset:         32
        .size:           8
        .value_kind:     global_buffer
      - .offset:         40
        .size:           8
        .value_kind:     by_value
      - .address_space:  global
        .offset:         48
        .size:           8
        .value_kind:     global_buffer
      - .address_space:  global
        .offset:         56
        .size:           8
        .value_kind:     global_buffer
      - .address_space:  global
        .offset:         64
        .size:           8
        .value_kind:     global_buffer
      - .address_space:  global
        .offset:         72
        .size:           8
        .value_kind:     global_buffer
      - .offset:         80
        .size:           4
        .value_kind:     by_value
      - .address_space:  global
        .offset:         88
        .size:           8
        .value_kind:     global_buffer
      - .address_space:  global
        .offset:         96
        .size:           8
        .value_kind:     global_buffer
    .group_segment_fixed_size: 55488
    .kernarg_segment_align: 8
    .kernarg_segment_size: 104
    .language:       OpenCL C
    .language_version:
      - 2
      - 0
    .max_flat_workgroup_size: 204
    .name:           bluestein_single_fwd_len1156_dim1_dp_op_CI_CI
    .private_segment_fixed_size: 448
    .sgpr_count:     58
    .sgpr_spill_count: 0
    .symbol:         bluestein_single_fwd_len1156_dim1_dp_op_CI_CI.kd
    .uniform_work_group_size: 1
    .uses_dynamic_stack: false
    .vgpr_count:     256
    .vgpr_spill_count: 128
    .wavefront_size: 32
    .workgroup_processor_mode: 1
amdhsa.target:   amdgcn-amd-amdhsa--gfx1201
amdhsa.version:
  - 1
  - 2
...

	.end_amdgpu_metadata
